;; amdgpu-corpus repo=ROCm/bitsandbytes kind=harvested arch=n/a opt=n/a
	.text
	.amdgcn_target "amdgcn-amd-amdhsa--gfx1100"
	.amdhsa_code_object_version 6
	.protected	_Z27kspmm_coo_very_sparse_naiveIaLi16ELi8EEvPiS0_S0_S0_S0_P6__halfPT_S2_Pfiiii ; -- Begin function _Z27kspmm_coo_very_sparse_naiveIaLi16ELi8EEvPiS0_S0_S0_S0_P6__halfPT_S2_Pfiiii
	.globl	_Z27kspmm_coo_very_sparse_naiveIaLi16ELi8EEvPiS0_S0_S0_S0_P6__halfPT_S2_Pfiiii
	.p2align	8
	.type	_Z27kspmm_coo_very_sparse_naiveIaLi16ELi8EEvPiS0_S0_S0_S0_P6__halfPT_S2_Pfiiii,@function
_Z27kspmm_coo_very_sparse_naiveIaLi16ELi8EEvPiS0_S0_S0_S0_P6__halfPT_S2_Pfiiii: ; @_Z27kspmm_coo_very_sparse_naiveIaLi16ELi8EEvPiS0_S0_S0_S0_P6__halfPT_S2_Pfiiii
; %bb.0:
	s_mov_b32 s6, s15
	s_load_b512 s[8:23], s[0:1], 0x0
	s_mov_b32 s7, 0
	s_delay_alu instid0(SALU_CYCLE_1)
	s_lshl_b64 s[2:3], s[6:7], 2
	s_waitcnt lgkmcnt(0)
	s_add_u32 s8, s8, s2
	s_addc_u32 s9, s9, s3
	s_add_u32 s2, s10, s2
	s_addc_u32 s3, s11, s3
	s_load_b32 s4, s[2:3], 0x0
	s_load_b32 s24, s[8:9], 0x0
	s_mov_b32 s2, 0
	s_waitcnt lgkmcnt(0)
	s_cmp_eq_u32 s4, 0
	s_cbranch_scc1 .LBB35_2
; %bb.1:
	s_ashr_i32 s5, s4, 31
	s_delay_alu instid0(SALU_CYCLE_1) | instskip(NEXT) | instid1(SALU_CYCLE_1)
	s_lshl_b64 s[2:3], s[4:5], 2
	s_add_u32 s2, s12, s2
	s_addc_u32 s3, s13, s3
	s_add_u32 s2, s2, -4
	s_addc_u32 s3, s3, -1
	s_load_b32 s2, s[2:3], 0x0
.LBB35_2:
	s_waitcnt lgkmcnt(0)
	s_ashr_i32 s3, s2, 31
	v_dual_mov_b32 v1, 0 :: v_dual_mov_b32 v2, 0
	s_lshl_b64 s[4:5], s[2:3], 2
	s_delay_alu instid0(SALU_CYCLE_1)
	s_add_u32 s8, s14, s4
	s_addc_u32 s9, s15, s5
	s_cmp_lt_i32 s24, 1
	s_cselect_b32 s25, -1, 0
	s_cmp_gt_i32 s24, 0
	s_cbranch_scc0 .LBB35_4
; %bb.3:
	s_lshl_b64 s[6:7], s[2:3], 1
	v_mov_b32_e32 v2, 0
	s_add_u32 s6, s18, s6
	s_addc_u32 s7, s19, s7
	global_load_u16 v2, v2, s[6:7]
	s_add_u32 s6, s16, s4
	s_addc_u32 s7, s17, s5
	s_load_b32 s7, s[6:7], 0x0
.LBB35_4:
	s_load_b32 s6, s[8:9], 0x0
	s_waitcnt lgkmcnt(0)
	v_mov_b32_e32 v3, s7
	s_mov_b32 s7, 0
	s_cmp_lt_i32 s24, 2
	s_mov_b32 s8, 0
	s_waitcnt vmcnt(0)
	s_clause 0x1
	scratch_store_b16 off, v2, off
	scratch_store_b32 off, v3, off offset:64
	s_cbranch_scc1 .LBB35_6
; %bb.5:
	s_lshl_b64 s[8:9], s[2:3], 1
	v_mov_b32_e32 v1, 0
	s_add_u32 s8, s18, s8
	s_addc_u32 s9, s19, s9
	global_load_u16 v1, v1, s[8:9] offset:2
	s_add_u32 s8, s16, s4
	s_addc_u32 s9, s17, s5
	s_load_b32 s8, s[8:9], 0x4
.LBB35_6:
	s_waitcnt lgkmcnt(0)
	v_dual_mov_b32 v4, s8 :: v_dual_mov_b32 v3, 0
	v_mov_b32_e32 v2, 0
	s_cmp_lt_i32 s24, 3
	s_waitcnt vmcnt(0)
	s_clause 0x1
	scratch_store_b16 off, v1, off offset:2
	scratch_store_b32 off, v4, off offset:68
	s_cbranch_scc1 .LBB35_8
; %bb.7:
	s_lshl_b64 s[8:9], s[2:3], 1
	v_mov_b32_e32 v1, 0
	s_add_u32 s8, s18, s8
	s_addc_u32 s9, s19, s9
	global_load_u16 v3, v1, s[8:9] offset:4
	s_add_u32 s8, s16, s4
	s_addc_u32 s9, s17, s5
	s_load_b32 s7, s[8:9], 0x8
.LBB35_8:
	s_waitcnt lgkmcnt(0)
	v_mov_b32_e32 v1, s7
	s_mov_b32 s7, 0
	s_cmp_lt_i32 s24, 4
	s_mov_b32 s8, 0
	s_waitcnt vmcnt(0)
	s_clause 0x1
	scratch_store_b16 off, v3, off offset:4
	scratch_store_b32 off, v1, off offset:72
	s_cbranch_scc1 .LBB35_10
; %bb.9:
	s_lshl_b64 s[8:9], s[2:3], 1
	v_mov_b32_e32 v1, 0
	s_add_u32 s8, s18, s8
	s_addc_u32 s9, s19, s9
	global_load_u16 v2, v1, s[8:9] offset:6
	s_add_u32 s8, s16, s4
	s_addc_u32 s9, s17, s5
	s_load_b32 s8, s[8:9], 0xc
.LBB35_10:
	s_waitcnt lgkmcnt(0)
	v_dual_mov_b32 v4, s8 :: v_dual_mov_b32 v1, 0
	v_mov_b32_e32 v3, 0
	s_cmp_lt_i32 s24, 5
	s_waitcnt vmcnt(0)
	s_clause 0x1
	scratch_store_b16 off, v2, off offset:6
	scratch_store_b32 off, v4, off offset:76
	s_cbranch_scc1 .LBB35_12
; %bb.11:
	s_lshl_b64 s[8:9], s[2:3], 1
	v_mov_b32_e32 v2, 0
	s_add_u32 s8, s18, s8
	s_addc_u32 s9, s19, s9
	global_load_u16 v3, v2, s[8:9] offset:8
	s_add_u32 s8, s16, s4
	s_addc_u32 s9, s17, s5
	s_load_b32 s7, s[8:9], 0x10
.LBB35_12:
	s_waitcnt lgkmcnt(0)
	v_mov_b32_e32 v2, s7
	s_mov_b32 s7, 0
	s_cmp_lt_i32 s24, 6
	s_mov_b32 s8, 0
	s_waitcnt vmcnt(0)
	s_clause 0x1
	scratch_store_b16 off, v3, off offset:8
	;; [unrolled: 39-line block ×14, first 2 shown]
	scratch_store_b32 off, v2, off offset:176
	s_cbranch_scc1 .LBB35_62
; %bb.61:
	s_lshl_b64 s[8:9], s[2:3], 1
	v_mov_b32_e32 v1, 0
	s_add_u32 s8, s18, s8
	s_addc_u32 s9, s19, s9
	global_load_u16 v3, v1, s[8:9] offset:58
	s_add_u32 s8, s16, s4
	s_addc_u32 s9, s17, s5
	s_load_b32 s8, s[8:9], 0x74
.LBB35_62:
	s_waitcnt lgkmcnt(0)
	v_dual_mov_b32 v4, s8 :: v_dual_mov_b32 v1, 0
	v_mov_b32_e32 v2, 0
	s_cmp_lt_i32 s24, 31
	s_waitcnt vmcnt(0)
	s_clause 0x1
	scratch_store_b16 off, v3, off offset:58
	scratch_store_b32 off, v4, off offset:180
	s_cbranch_scc1 .LBB35_64
; %bb.63:
	s_lshl_b64 s[8:9], s[2:3], 1
	v_mov_b32_e32 v2, 0
	s_add_u32 s8, s18, s8
	s_addc_u32 s9, s19, s9
	global_load_u16 v2, v2, s[8:9] offset:60
	s_add_u32 s8, s16, s4
	s_addc_u32 s9, s17, s5
	s_load_b32 s7, s[8:9], 0x78
.LBB35_64:
	s_waitcnt lgkmcnt(0)
	v_mov_b32_e32 v3, s7
	s_cmp_lt_i32 s24, 32
	s_mov_b32 s7, 0
	s_waitcnt vmcnt(0)
	s_clause 0x1
	scratch_store_b16 off, v2, off offset:60
	scratch_store_b32 off, v3, off offset:184
	s_cbranch_scc1 .LBB35_66
; %bb.65:
	s_lshl_b64 s[2:3], s[2:3], 1
	v_mov_b32_e32 v1, 0
	s_add_u32 s2, s18, s2
	s_addc_u32 s3, s19, s3
	global_load_u16 v1, v1, s[2:3] offset:62
	s_add_u32 s2, s16, s4
	s_addc_u32 s3, s17, s5
	s_load_b32 s7, s[2:3], 0x7c
.LBB35_66:
	s_load_b32 s19, s[0:1], 0x54
	s_waitcnt lgkmcnt(0)
	v_dual_mov_b32 v3, s7 :: v_dual_lshlrev_b32 v2, 4, v0
	s_mov_b32 s2, exec_lo
	s_waitcnt vmcnt(0)
	s_clause 0x1
	scratch_store_b16 off, v1, off offset:62
	scratch_store_b32 off, v3, off offset:188
	v_and_b32_e32 v7, 0x3e00, v2
	s_delay_alu instid0(VALU_DEP_1)
	v_cmpx_gt_i32_e64 s19, v7
	s_cbranch_execz .LBB35_257
; %bb.67:
	s_clause 0x1
	s_load_b64 s[2:3], s[0:1], 0x40
	s_load_b32 s0, s[0:1], 0x64
	s_mul_i32 s26, s6, s19
	v_and_b32_e32 v8, 0x1f0, v2
	v_add_lshl_u32 v2, v0, v7, 2
	v_dual_mov_b32 v10, v7 :: v_dual_lshlrev_b32 v9, 1, v0
	s_mov_b32 s27, 0
	s_delay_alu instid0(VALU_DEP_3) | instskip(NEXT) | instid1(VALU_DEP_1)
	v_or_b32_e32 v1, v7, v8
	v_lshlrev_b32_e32 v11, 1, v1
	s_waitcnt lgkmcnt(0)
	s_cmp_lg_u64 s[2:3], 0
	v_add_co_u32 v1, s1, s2, v2
	s_cselect_b32 s28, -1, 0
	s_and_b32 s29, s0, 0xffff
	v_add_co_ci_u32_e64 v2, null, s3, 0, s1
	s_lshl_b32 s30, s29, 4
	s_add_u32 s31, s22, 2
	s_addc_u32 s33, s23, 0
	s_add_u32 s34, s22, 4
	s_addc_u32 s35, s23, 0
	;; [unrolled: 2-line block ×15, first 2 shown]
	s_ashr_i32 s62, s26, 31
	s_add_u32 s63, s22, 16
	s_addc_u32 s64, s23, 0
	s_add_u32 s65, s22, 18
	s_addc_u32 s66, s23, 0
	;; [unrolled: 2-line block ×8, first 2 shown]
	s_lshl_b32 s79, s29, 1
	s_lshl_b32 s80, s29, 2
	s_branch .LBB35_69
.LBB35_68:                              ;   in Loop: Header=BB35_69 Depth=1
	s_or_b32 exec_lo, exec_lo, s0
	v_add_nc_u32_e32 v10, s30, v10
	s_delay_alu instid0(VALU_DEP_1) | instskip(SKIP_1) | instid1(SALU_CYCLE_1)
	v_cmp_le_i32_e32 vcc_lo, s19, v10
	s_or_b32 s27, vcc_lo, s27
	s_and_not1_b32 exec_lo, exec_lo, s27
	s_cbranch_execz .LBB35_257
.LBB35_69:                              ; =>This Loop Header: Depth=1
                                        ;     Child Loop BB35_72 Depth 2
                                        ;     Child Loop BB35_83 Depth 2
	s_and_not1_b32 vcc_lo, exec_lo, s28
	s_cbranch_vccnz .LBB35_75
; %bb.70:                               ;   in Loop: Header=BB35_69 Depth=1
	v_dual_mov_b32 v4, v2 :: v_dual_mov_b32 v3, v1
	v_dual_mov_b32 v5, v9 :: v_dual_mov_b32 v6, v0
	s_mov_b32 s1, 0
	s_branch .LBB35_72
	.p2align	6
.LBB35_71:                              ;   in Loop: Header=BB35_72 Depth=2
	s_or_b32 exec_lo, exec_lo, s0
	v_add_nc_u32_e32 v6, s29, v6
	v_add_co_u32 v3, s0, v3, s80
	v_add_nc_u32_e32 v5, s79, v5
	v_add_co_ci_u32_e64 v4, s0, 0, v4, s0
	s_delay_alu instid0(VALU_DEP_4) | instskip(SKIP_1) | instid1(SALU_CYCLE_1)
	v_cmp_lt_u32_e32 vcc_lo, 0x7ff, v6
	s_or_b32 s1, vcc_lo, s1
	s_and_not1_b32 exec_lo, exec_lo, s1
	s_cbranch_execz .LBB35_74
.LBB35_72:                              ;   Parent Loop BB35_69 Depth=1
                                        ; =>  This Inner Loop Header: Depth=2
	s_delay_alu instid0(VALU_DEP_1) | instskip(SKIP_1) | instid1(VALU_DEP_1)
	v_add_nc_u32_e32 v12, v7, v6
	s_mov_b32 s0, exec_lo
	v_cmpx_gt_i32_e64 s19, v12
	s_cbranch_execz .LBB35_71
; %bb.73:                               ;   in Loop: Header=BB35_72 Depth=2
	global_load_b32 v12, v[3:4], off
	s_waitcnt vmcnt(0)
	v_cvt_f16_f32_e32 v12, v12
	ds_store_b16 v5, v12
	s_branch .LBB35_71
.LBB35_74:                              ;   in Loop: Header=BB35_69 Depth=1
	s_or_b32 exec_lo, exec_lo, s1
	s_waitcnt lgkmcnt(0)
	s_waitcnt_vscnt null, 0x0
	s_barrier
	buffer_gl0_inv
.LBB35_75:                              ;   in Loop: Header=BB35_69 Depth=1
	v_add_nc_u32_e32 v12, v10, v8
	s_and_not1_b32 vcc_lo, exec_lo, s25
	s_cbranch_vccnz .LBB35_77
; %bb.76:                               ;   in Loop: Header=BB35_69 Depth=1
	s_delay_alu instid0(VALU_DEP_1)
	v_or_b32_e32 v14, 8, v12
	s_mov_b32 s1, 0
	s_mov_b32 s0, 0
	s_branch .LBB35_78
.LBB35_77:                              ;   in Loop: Header=BB35_69 Depth=1
	s_mov_b32 s1, -1
                                        ; implicit-def: $sgpr0
                                        ; implicit-def: $vgpr14
.LBB35_78:                              ;   in Loop: Header=BB35_69 Depth=1
	v_mov_b32_e32 v41, s0
	v_add_nc_u32_e32 v15, 16, v12
	s_and_not1_b32 vcc_lo, exec_lo, s1
	s_delay_alu instid0(VALU_DEP_2) | instskip(NEXT) | instid1(VALU_DEP_2)
	v_mov_b32_e32 v6, v41
	v_cmp_le_i32_e64 s0, s19, v15
	v_mov_b32_e32 v5, v41
	v_mov_b32_e32 v40, v41
	;; [unrolled: 1-line block ×14, first 2 shown]
	s_cbranch_vccnz .LBB35_217
; %bb.79:                               ;   in Loop: Header=BB35_69 Depth=1
	v_or_b32_e32 v3, 1, v12
	v_or_b32_e32 v4, 2, v12
	;; [unrolled: 1-line block ×5, first 2 shown]
	v_cmp_gt_i32_e64 s4, s19, v3
	v_cmp_gt_i32_e64 s5, s19, v4
	;; [unrolled: 1-line block ×4, first 2 shown]
	v_or_b32_e32 v3, 5, v12
	v_or_b32_e32 v4, 6, v12
	;; [unrolled: 1-line block ×5, first 2 shown]
	v_cmp_gt_i32_e64 s8, s19, v3
	v_cmp_gt_i32_e64 s9, s19, v4
	v_cmp_gt_i32_e64 s10, s19, v5
	v_cmp_gt_i32_e64 s11, s19, v6
	v_cmp_gt_i32_e64 s12, s19, v13
	v_or_b32_e32 v3, 11, v12
	v_or_b32_e32 v4, 12, v12
	;; [unrolled: 1-line block ×5, first 2 shown]
	v_cmp_gt_i32_e64 s1, s19, v12
	v_cmp_gt_i32_e64 s2, s19, v14
	v_cmp_le_i32_e64 s3, s19, v14
	v_cmp_gt_i32_e64 s13, s19, v3
	v_cmp_gt_i32_e64 s14, s19, v4
	;; [unrolled: 1-line block ×5, first 2 shown]
	v_ashrrev_i32_e32 v20, 31, v12
	v_dual_mov_b32 v21, 64 :: v_dual_mov_b32 v22, 0
	v_dual_mov_b32 v13, 0 :: v_dual_mov_b32 v16, 0
	;; [unrolled: 1-line block ×9, first 2 shown]
	s_mov_b32 s81, s24
	s_branch .LBB35_83
.LBB35_80:                              ;   in Loop: Header=BB35_83 Depth=2
	v_dual_mov_b32 v25, v32 :: v_dual_mov_b32 v24, v34
	v_dual_mov_b32 v23, v37 :: v_dual_mov_b32 v18, v3
	v_mov_b32_e32 v19, v6
	v_dual_mov_b32 v17, v5 :: v_dual_mov_b32 v16, v38
	v_mov_b32_e32 v13, v4
.LBB35_81:                              ;   in Loop: Header=BB35_83 Depth=2
	s_or_b32 exec_lo, exec_lo, s83
	v_dual_mov_b32 v41, v26 :: v_dual_mov_b32 v6, v28
	v_dual_mov_b32 v5, v29 :: v_dual_mov_b32 v40, v30
	v_dual_mov_b32 v38, v31 :: v_dual_mov_b32 v37, v33
	v_mov_b32_e32 v34, v35
	v_mov_b32_e32 v32, v36
.LBB35_82:                              ;   in Loop: Header=BB35_83 Depth=2
	s_or_b32 exec_lo, exec_lo, s82
	v_add_nc_u32_e32 v21, 4, v21
	v_add_nc_u32_e32 v22, 2, v22
	s_add_i32 s81, s81, -1
	s_delay_alu instid0(SALU_CYCLE_1)
	s_cmp_eq_u32 s81, 0
	s_cbranch_scc1 .LBB35_217
.LBB35_83:                              ;   Parent Loop BB35_69 Depth=1
                                        ; =>  This Inner Loop Header: Depth=2
	s_and_saveexec_b32 s82, s1
	s_cbranch_execz .LBB35_82
; %bb.84:                               ;   in Loop: Header=BB35_83 Depth=2
	scratch_load_b32 v3, v21, off
	s_waitcnt vmcnt(0)
	v_mul_lo_u32 v39, v3, s19
                                        ; implicit-def: $vgpr3_vgpr4
	s_delay_alu instid0(VALU_DEP_1) | instskip(SKIP_1) | instid1(SALU_CYCLE_1)
	v_add_nc_u32_e32 v26, v12, v39
	s_and_saveexec_b32 s18, s3
	s_xor_b32 s18, exec_lo, s18
	s_cbranch_execnz .LBB35_168
; %bb.85:                               ;   in Loop: Header=BB35_83 Depth=2
	s_and_not1_saveexec_b32 s18, s18
	s_cbranch_execnz .LBB35_181
.LBB35_86:                              ;   in Loop: Header=BB35_83 Depth=2
	s_or_b32 exec_lo, exec_lo, s18
	s_delay_alu instid0(SALU_CYCLE_1)
	s_and_not1_b32 vcc_lo, exec_lo, s28
	s_cbranch_vccnz .LBB35_182
.LBB35_87:                              ;   in Loop: Header=BB35_83 Depth=2
	scratch_load_u16 v27, v22, off
	s_waitcnt vmcnt(1)
	v_and_b32_e32 v26, 0xff, v3
	s_delay_alu instid0(VALU_DEP_1) | instskip(SKIP_3) | instid1(VALU_DEP_1)
	v_cmp_ne_u16_e32 vcc_lo, 0, v26
	v_mov_b32_e32 v26, v41
	s_waitcnt vmcnt(0)
	v_cmp_neq_f16_e64 s18, 0, v27
	s_and_b32 s83, vcc_lo, s18
	s_delay_alu instid0(SALU_CYCLE_1)
	s_and_saveexec_b32 s18, s83
	s_cbranch_execz .LBB35_89
; %bb.88:                               ;   in Loop: Header=BB35_83 Depth=2
	ds_load_u16 v26, v11
	s_waitcnt lgkmcnt(0)
	v_cvt_f32_f16_e32 v26, v26
	s_delay_alu instid0(VALU_DEP_1) | instskip(NEXT) | instid1(VALU_DEP_1)
	v_div_scale_f32 v28, null, 0x42fe0000, 0x42fe0000, v26
	v_rcp_f32_e32 v29, v28
	s_waitcnt_depctr 0xfff
	v_fma_f32 v30, -v28, v29, 1.0
	s_delay_alu instid0(VALU_DEP_1) | instskip(SKIP_1) | instid1(VALU_DEP_1)
	v_fmac_f32_e32 v29, v30, v29
	v_div_scale_f32 v30, vcc_lo, v26, 0x42fe0000, v26
	v_mul_f32_e32 v31, v30, v29
	s_delay_alu instid0(VALU_DEP_1) | instskip(NEXT) | instid1(VALU_DEP_1)
	v_fma_f32 v33, -v28, v31, v30
	v_fmac_f32_e32 v31, v33, v29
	v_bfe_i32 v33, v3, 0, 8
	s_delay_alu instid0(VALU_DEP_2) | instskip(NEXT) | instid1(VALU_DEP_2)
	v_fma_f32 v28, -v28, v31, v30
	v_bfe_i32 v30, v33, 0, 16
	s_delay_alu instid0(VALU_DEP_2) | instskip(NEXT) | instid1(VALU_DEP_2)
	v_div_fmas_f32 v28, v28, v29, v31
	v_cvt_f32_i32_e32 v29, v30
	s_delay_alu instid0(VALU_DEP_2) | instskip(NEXT) | instid1(VALU_DEP_1)
	v_div_fixup_f32 v26, v28, 0x42fe0000, v26
	v_mul_f32_e32 v26, v26, v29
	s_delay_alu instid0(VALU_DEP_1)
	v_fma_mixlo_f16 v26, v26, v27, v41 op_sel_hi:[0,1,1]
.LBB35_89:                              ;   in Loop: Header=BB35_83 Depth=2
	s_or_b32 exec_lo, exec_lo, s18
	s_cbranch_execnz .LBB35_91
.LBB35_90:                              ;   in Loop: Header=BB35_83 Depth=2
	scratch_load_u16 v27, v22, off
	s_waitcnt vmcnt(1)
	v_bfe_i32 v26, v3, 0, 8
	s_delay_alu instid0(VALU_DEP_1) | instskip(NEXT) | instid1(VALU_DEP_1)
	v_bfe_i32 v26, v26, 0, 16
	v_cvt_f32_i32_e32 v26, v26
	s_waitcnt vmcnt(0)
	s_delay_alu instid0(VALU_DEP_1)
	v_fma_mixlo_f16 v26, v26, v27, v41 op_sel_hi:[0,1,1]
.LBB35_91:                              ;   in Loop: Header=BB35_83 Depth=2
	v_cmp_neq_f16_e64 s18, 0, v27
	s_waitcnt vmcnt(0)
	v_lshrrev_b32_e32 v29, 8, v3
	s_and_not1_b32 vcc_lo, exec_lo, s28
	s_cbranch_vccnz .LBB35_183
; %bb.92:                               ;   in Loop: Header=BB35_83 Depth=2
	s_delay_alu instid0(VALU_DEP_1) | instskip(NEXT) | instid1(VALU_DEP_1)
	v_and_b32_e32 v28, 0xff, v29
	v_cmp_ne_u16_e32 vcc_lo, 0, v28
	v_mov_b32_e32 v28, v6
	s_and_b32 s83, vcc_lo, s18
	s_delay_alu instid0(SALU_CYCLE_1)
	s_and_saveexec_b32 s18, s83
	s_cbranch_execz .LBB35_94
; %bb.93:                               ;   in Loop: Header=BB35_83 Depth=2
	ds_load_u16 v28, v11 offset:2
	s_waitcnt lgkmcnt(0)
	v_cvt_f32_f16_e32 v28, v28
	s_delay_alu instid0(VALU_DEP_1) | instskip(NEXT) | instid1(VALU_DEP_1)
	v_div_scale_f32 v30, null, 0x42fe0000, 0x42fe0000, v28
	v_rcp_f32_e32 v31, v30
	s_waitcnt_depctr 0xfff
	v_fma_f32 v33, -v30, v31, 1.0
	s_delay_alu instid0(VALU_DEP_1) | instskip(SKIP_1) | instid1(VALU_DEP_1)
	v_fmac_f32_e32 v31, v33, v31
	v_div_scale_f32 v33, vcc_lo, v28, 0x42fe0000, v28
	v_mul_f32_e32 v35, v33, v31
	s_delay_alu instid0(VALU_DEP_1) | instskip(NEXT) | instid1(VALU_DEP_1)
	v_fma_f32 v36, -v30, v35, v33
	v_fmac_f32_e32 v35, v36, v31
	v_bfe_i32 v36, v29, 0, 8
	s_delay_alu instid0(VALU_DEP_2) | instskip(NEXT) | instid1(VALU_DEP_2)
	v_fma_f32 v30, -v30, v35, v33
	v_bfe_i32 v33, v36, 0, 16
	s_delay_alu instid0(VALU_DEP_2) | instskip(NEXT) | instid1(VALU_DEP_2)
	v_div_fmas_f32 v30, v30, v31, v35
	v_cvt_f32_i32_e32 v31, v33
	s_delay_alu instid0(VALU_DEP_2) | instskip(NEXT) | instid1(VALU_DEP_1)
	v_div_fixup_f32 v28, v30, 0x42fe0000, v28
	v_mul_f32_e32 v28, v28, v31
	s_delay_alu instid0(VALU_DEP_1)
	v_fma_mixlo_f16 v28, v28, v27, v6 op_sel_hi:[0,1,1]
.LBB35_94:                              ;   in Loop: Header=BB35_83 Depth=2
	s_or_b32 exec_lo, exec_lo, s18
	s_cbranch_execnz .LBB35_96
.LBB35_95:                              ;   in Loop: Header=BB35_83 Depth=2
	s_delay_alu instid0(VALU_DEP_1) | instskip(NEXT) | instid1(VALU_DEP_1)
	v_bfe_i32 v28, v29, 0, 8
	v_bfe_i32 v28, v28, 0, 16
	s_delay_alu instid0(VALU_DEP_1) | instskip(NEXT) | instid1(VALU_DEP_1)
	v_cvt_f32_i32_e32 v28, v28
	v_fma_mixlo_f16 v28, v28, v27, v6 op_sel_hi:[0,1,1]
.LBB35_96:                              ;   in Loop: Header=BB35_83 Depth=2
	v_lshrrev_b32_e32 v6, 16, v3
	s_and_not1_b32 vcc_lo, exec_lo, s28
	s_cbranch_vccnz .LBB35_184
; %bb.97:                               ;   in Loop: Header=BB35_83 Depth=2
	s_delay_alu instid0(VALU_DEP_1) | instskip(SKIP_1) | instid1(VALU_DEP_2)
	v_and_b32_e32 v29, 0xff, v6
	v_cmp_neq_f16_e64 s18, 0, v27
	v_cmp_ne_u16_e32 vcc_lo, 0, v29
	v_mov_b32_e32 v29, v5
	s_delay_alu instid0(VALU_DEP_3) | instskip(NEXT) | instid1(SALU_CYCLE_1)
	s_and_b32 s83, vcc_lo, s18
	s_and_saveexec_b32 s18, s83
	s_cbranch_execz .LBB35_99
; %bb.98:                               ;   in Loop: Header=BB35_83 Depth=2
	ds_load_u16 v29, v11 offset:4
	s_waitcnt lgkmcnt(0)
	v_cvt_f32_f16_e32 v29, v29
	s_delay_alu instid0(VALU_DEP_1) | instskip(NEXT) | instid1(VALU_DEP_1)
	v_div_scale_f32 v30, null, 0x42fe0000, 0x42fe0000, v29
	v_rcp_f32_e32 v31, v30
	s_waitcnt_depctr 0xfff
	v_fma_f32 v33, -v30, v31, 1.0
	s_delay_alu instid0(VALU_DEP_1) | instskip(SKIP_1) | instid1(VALU_DEP_1)
	v_fmac_f32_e32 v31, v33, v31
	v_div_scale_f32 v33, vcc_lo, v29, 0x42fe0000, v29
	v_mul_f32_e32 v35, v33, v31
	s_delay_alu instid0(VALU_DEP_1) | instskip(NEXT) | instid1(VALU_DEP_1)
	v_fma_f32 v36, -v30, v35, v33
	v_fmac_f32_e32 v35, v36, v31
	v_bfe_i32 v36, v6, 0, 8
	s_delay_alu instid0(VALU_DEP_2) | instskip(NEXT) | instid1(VALU_DEP_2)
	v_fma_f32 v30, -v30, v35, v33
	v_bfe_i32 v33, v36, 0, 16
	s_delay_alu instid0(VALU_DEP_2) | instskip(NEXT) | instid1(VALU_DEP_2)
	v_div_fmas_f32 v30, v30, v31, v35
	v_cvt_f32_i32_e32 v31, v33
	s_delay_alu instid0(VALU_DEP_2) | instskip(NEXT) | instid1(VALU_DEP_1)
	v_div_fixup_f32 v29, v30, 0x42fe0000, v29
	v_mul_f32_e32 v29, v29, v31
	s_delay_alu instid0(VALU_DEP_1)
	v_fma_mixlo_f16 v29, v29, v27, v5 op_sel_hi:[0,1,1]
.LBB35_99:                              ;   in Loop: Header=BB35_83 Depth=2
	s_or_b32 exec_lo, exec_lo, s18
	s_cbranch_execnz .LBB35_101
.LBB35_100:                             ;   in Loop: Header=BB35_83 Depth=2
	s_delay_alu instid0(VALU_DEP_1) | instskip(NEXT) | instid1(VALU_DEP_1)
	v_bfe_i32 v6, v6, 0, 8
	v_bfe_i32 v6, v6, 0, 16
	s_delay_alu instid0(VALU_DEP_1) | instskip(NEXT) | instid1(VALU_DEP_1)
	v_cvt_f32_i32_e32 v6, v6
	v_fma_mixlo_f16 v29, v6, v27, v5 op_sel_hi:[0,1,1]
.LBB35_101:                             ;   in Loop: Header=BB35_83 Depth=2
	s_and_not1_b32 vcc_lo, exec_lo, s28
	s_cbranch_vccnz .LBB35_185
; %bb.102:                              ;   in Loop: Header=BB35_83 Depth=2
	v_lshrrev_b64 v[5:6], 24, v[3:4]
	v_cmp_neq_f16_e64 s18, 0, v27
	v_mov_b32_e32 v30, v40
	s_delay_alu instid0(VALU_DEP_3) | instskip(NEXT) | instid1(VALU_DEP_1)
	v_and_b32_e32 v6, 0xff, v5
	v_cmp_ne_u16_e32 vcc_lo, 0, v6
	s_delay_alu instid0(VALU_DEP_4) | instskip(NEXT) | instid1(SALU_CYCLE_1)
	s_and_b32 s83, vcc_lo, s18
	s_and_saveexec_b32 s18, s83
	s_cbranch_execz .LBB35_104
; %bb.103:                              ;   in Loop: Header=BB35_83 Depth=2
	ds_load_u16 v6, v11 offset:6
	v_bfe_i32 v5, v5, 0, 8
	s_delay_alu instid0(VALU_DEP_1) | instskip(NEXT) | instid1(VALU_DEP_1)
	v_bfe_i32 v5, v5, 0, 16
	v_cvt_f32_i32_e32 v5, v5
	s_waitcnt lgkmcnt(0)
	v_cvt_f32_f16_e32 v6, v6
	s_delay_alu instid0(VALU_DEP_1) | instskip(NEXT) | instid1(VALU_DEP_1)
	v_div_scale_f32 v30, null, 0x42fe0000, 0x42fe0000, v6
	v_rcp_f32_e32 v31, v30
	s_waitcnt_depctr 0xfff
	v_fma_f32 v33, -v30, v31, 1.0
	s_delay_alu instid0(VALU_DEP_1) | instskip(SKIP_1) | instid1(VALU_DEP_1)
	v_fmac_f32_e32 v31, v33, v31
	v_div_scale_f32 v33, vcc_lo, v6, 0x42fe0000, v6
	v_mul_f32_e32 v35, v33, v31
	s_delay_alu instid0(VALU_DEP_1) | instskip(NEXT) | instid1(VALU_DEP_1)
	v_fma_f32 v36, -v30, v35, v33
	v_fmac_f32_e32 v35, v36, v31
	s_delay_alu instid0(VALU_DEP_1) | instskip(NEXT) | instid1(VALU_DEP_1)
	v_fma_f32 v30, -v30, v35, v33
	v_div_fmas_f32 v30, v30, v31, v35
	s_delay_alu instid0(VALU_DEP_1) | instskip(NEXT) | instid1(VALU_DEP_1)
	v_div_fixup_f32 v6, v30, 0x42fe0000, v6
	v_mul_f32_e32 v5, v6, v5
	s_delay_alu instid0(VALU_DEP_1)
	v_fma_mixlo_f16 v30, v5, v27, v40 op_sel_hi:[0,1,1]
.LBB35_104:                             ;   in Loop: Header=BB35_83 Depth=2
	s_or_b32 exec_lo, exec_lo, s18
	s_cbranch_execnz .LBB35_106
.LBB35_105:                             ;   in Loop: Header=BB35_83 Depth=2
	v_lshrrev_b32_e32 v3, 24, v3
	s_delay_alu instid0(VALU_DEP_1) | instskip(NEXT) | instid1(VALU_DEP_1)
	v_bfe_i32 v3, v3, 0, 8
	v_bfe_i32 v3, v3, 0, 16
	s_delay_alu instid0(VALU_DEP_1) | instskip(NEXT) | instid1(VALU_DEP_1)
	v_cvt_f32_i32_e32 v3, v3
	v_fma_mixlo_f16 v30, v3, v27, v40 op_sel_hi:[0,1,1]
.LBB35_106:                             ;   in Loop: Header=BB35_83 Depth=2
	s_and_not1_b32 vcc_lo, exec_lo, s28
	s_cbranch_vccnz .LBB35_186
; %bb.107:                              ;   in Loop: Header=BB35_83 Depth=2
	v_and_b32_e32 v3, 0xff, v4
	v_cmp_neq_f16_e64 s18, 0, v27
	v_mov_b32_e32 v31, v38
	s_delay_alu instid0(VALU_DEP_3) | instskip(NEXT) | instid1(VALU_DEP_3)
	v_cmp_ne_u16_e32 vcc_lo, 0, v3
	s_and_b32 s83, vcc_lo, s18
	s_delay_alu instid0(SALU_CYCLE_1)
	s_and_saveexec_b32 s18, s83
	s_cbranch_execz .LBB35_109
; %bb.108:                              ;   in Loop: Header=BB35_83 Depth=2
	ds_load_u16 v3, v11 offset:8
	s_waitcnt lgkmcnt(0)
	v_cvt_f32_f16_e32 v3, v3
	s_delay_alu instid0(VALU_DEP_1) | instskip(NEXT) | instid1(VALU_DEP_1)
	v_div_scale_f32 v5, null, 0x42fe0000, 0x42fe0000, v3
	v_rcp_f32_e32 v6, v5
	s_waitcnt_depctr 0xfff
	v_fma_f32 v31, -v5, v6, 1.0
	s_delay_alu instid0(VALU_DEP_1) | instskip(SKIP_1) | instid1(VALU_DEP_1)
	v_fmac_f32_e32 v6, v31, v6
	v_div_scale_f32 v31, vcc_lo, v3, 0x42fe0000, v3
	v_mul_f32_e32 v33, v31, v6
	s_delay_alu instid0(VALU_DEP_1) | instskip(NEXT) | instid1(VALU_DEP_1)
	v_fma_f32 v35, -v5, v33, v31
	v_fmac_f32_e32 v33, v35, v6
	v_bfe_i32 v35, v4, 0, 8
	s_delay_alu instid0(VALU_DEP_2) | instskip(NEXT) | instid1(VALU_DEP_2)
	v_fma_f32 v5, -v5, v33, v31
	v_bfe_i32 v31, v35, 0, 16
	s_delay_alu instid0(VALU_DEP_2) | instskip(NEXT) | instid1(VALU_DEP_2)
	v_div_fmas_f32 v5, v5, v6, v33
	v_cvt_f32_i32_e32 v6, v31
	s_delay_alu instid0(VALU_DEP_2) | instskip(NEXT) | instid1(VALU_DEP_1)
	v_div_fixup_f32 v3, v5, 0x42fe0000, v3
	v_mul_f32_e32 v3, v3, v6
	s_delay_alu instid0(VALU_DEP_1)
	v_fma_mixlo_f16 v31, v3, v27, v38 op_sel_hi:[0,1,1]
.LBB35_109:                             ;   in Loop: Header=BB35_83 Depth=2
	s_or_b32 exec_lo, exec_lo, s18
	s_cbranch_execnz .LBB35_111
.LBB35_110:                             ;   in Loop: Header=BB35_83 Depth=2
	v_bfe_i32 v3, v4, 0, 8
	s_delay_alu instid0(VALU_DEP_1) | instskip(NEXT) | instid1(VALU_DEP_1)
	v_bfe_i32 v3, v3, 0, 16
	v_cvt_f32_i32_e32 v3, v3
	s_delay_alu instid0(VALU_DEP_1)
	v_fma_mixlo_f16 v31, v3, v27, v38 op_sel_hi:[0,1,1]
.LBB35_111:                             ;   in Loop: Header=BB35_83 Depth=2
	v_lshrrev_b32_e32 v3, 8, v4
	s_and_not1_b32 vcc_lo, exec_lo, s28
	s_cbranch_vccnz .LBB35_187
; %bb.112:                              ;   in Loop: Header=BB35_83 Depth=2
	s_delay_alu instid0(VALU_DEP_1) | instskip(SKIP_2) | instid1(VALU_DEP_3)
	v_and_b32_e32 v5, 0xff, v3
	v_cmp_neq_f16_e64 s18, 0, v27
	v_mov_b32_e32 v33, v37
	v_cmp_ne_u16_e32 vcc_lo, 0, v5
	s_delay_alu instid0(VALU_DEP_3) | instskip(NEXT) | instid1(SALU_CYCLE_1)
	s_and_b32 s83, vcc_lo, s18
	s_and_saveexec_b32 s18, s83
	s_cbranch_execz .LBB35_114
; %bb.113:                              ;   in Loop: Header=BB35_83 Depth=2
	ds_load_u16 v5, v11 offset:10
	s_waitcnt lgkmcnt(0)
	v_cvt_f32_f16_e32 v5, v5
	s_delay_alu instid0(VALU_DEP_1) | instskip(NEXT) | instid1(VALU_DEP_1)
	v_div_scale_f32 v6, null, 0x42fe0000, 0x42fe0000, v5
	v_rcp_f32_e32 v33, v6
	s_waitcnt_depctr 0xfff
	v_fma_f32 v35, -v6, v33, 1.0
	s_delay_alu instid0(VALU_DEP_1) | instskip(SKIP_1) | instid1(VALU_DEP_1)
	v_fmac_f32_e32 v33, v35, v33
	v_div_scale_f32 v35, vcc_lo, v5, 0x42fe0000, v5
	v_mul_f32_e32 v36, v35, v33
	s_delay_alu instid0(VALU_DEP_1) | instskip(NEXT) | instid1(VALU_DEP_1)
	v_fma_f32 v38, -v6, v36, v35
	v_fmac_f32_e32 v36, v38, v33
	v_bfe_i32 v38, v3, 0, 8
	s_delay_alu instid0(VALU_DEP_2) | instskip(NEXT) | instid1(VALU_DEP_2)
	v_fma_f32 v6, -v6, v36, v35
	v_bfe_i32 v35, v38, 0, 16
	s_delay_alu instid0(VALU_DEP_2) | instskip(NEXT) | instid1(VALU_DEP_2)
	v_div_fmas_f32 v6, v6, v33, v36
	v_cvt_f32_i32_e32 v33, v35
	s_delay_alu instid0(VALU_DEP_2) | instskip(NEXT) | instid1(VALU_DEP_1)
	v_div_fixup_f32 v5, v6, 0x42fe0000, v5
	v_mul_f32_e32 v5, v5, v33
	s_delay_alu instid0(VALU_DEP_1)
	v_fma_mixlo_f16 v33, v5, v27, v37 op_sel_hi:[0,1,1]
.LBB35_114:                             ;   in Loop: Header=BB35_83 Depth=2
	s_or_b32 exec_lo, exec_lo, s18
	s_cbranch_execnz .LBB35_116
.LBB35_115:                             ;   in Loop: Header=BB35_83 Depth=2
	s_delay_alu instid0(VALU_DEP_1) | instskip(NEXT) | instid1(VALU_DEP_1)
	v_bfe_i32 v3, v3, 0, 8
	v_bfe_i32 v3, v3, 0, 16
	s_delay_alu instid0(VALU_DEP_1) | instskip(NEXT) | instid1(VALU_DEP_1)
	v_cvt_f32_i32_e32 v3, v3
	v_fma_mixlo_f16 v33, v3, v27, v37 op_sel_hi:[0,1,1]
.LBB35_116:                             ;   in Loop: Header=BB35_83 Depth=2
	v_lshrrev_b32_e32 v3, 16, v4
	s_and_not1_b32 vcc_lo, exec_lo, s28
	s_cbranch_vccnz .LBB35_188
; %bb.117:                              ;   in Loop: Header=BB35_83 Depth=2
	s_delay_alu instid0(VALU_DEP_1) | instskip(SKIP_2) | instid1(VALU_DEP_3)
	v_and_b32_e32 v5, 0xff, v3
	v_cmp_neq_f16_e64 s18, 0, v27
	v_mov_b32_e32 v35, v34
	v_cmp_ne_u16_e32 vcc_lo, 0, v5
	s_delay_alu instid0(VALU_DEP_3) | instskip(NEXT) | instid1(SALU_CYCLE_1)
	s_and_b32 s83, vcc_lo, s18
	s_and_saveexec_b32 s18, s83
	s_cbranch_execz .LBB35_119
; %bb.118:                              ;   in Loop: Header=BB35_83 Depth=2
	ds_load_u16 v5, v11 offset:12
	s_waitcnt lgkmcnt(0)
	v_cvt_f32_f16_e32 v5, v5
	s_delay_alu instid0(VALU_DEP_1) | instskip(NEXT) | instid1(VALU_DEP_1)
	v_div_scale_f32 v6, null, 0x42fe0000, 0x42fe0000, v5
	v_rcp_f32_e32 v35, v6
	s_waitcnt_depctr 0xfff
	v_fma_f32 v36, -v6, v35, 1.0
	s_delay_alu instid0(VALU_DEP_1) | instskip(SKIP_1) | instid1(VALU_DEP_1)
	v_fmac_f32_e32 v35, v36, v35
	v_div_scale_f32 v36, vcc_lo, v5, 0x42fe0000, v5
	v_mul_f32_e32 v37, v36, v35
	s_delay_alu instid0(VALU_DEP_1) | instskip(NEXT) | instid1(VALU_DEP_1)
	v_fma_f32 v38, -v6, v37, v36
	v_fmac_f32_e32 v37, v38, v35
	v_bfe_i32 v38, v3, 0, 8
	s_delay_alu instid0(VALU_DEP_2) | instskip(NEXT) | instid1(VALU_DEP_2)
	v_fma_f32 v6, -v6, v37, v36
	v_bfe_i32 v36, v38, 0, 16
	s_delay_alu instid0(VALU_DEP_2) | instskip(NEXT) | instid1(VALU_DEP_2)
	v_div_fmas_f32 v6, v6, v35, v37
	v_cvt_f32_i32_e32 v35, v36
	s_delay_alu instid0(VALU_DEP_2) | instskip(NEXT) | instid1(VALU_DEP_1)
	v_div_fixup_f32 v5, v6, 0x42fe0000, v5
	v_mul_f32_e32 v5, v5, v35
	s_delay_alu instid0(VALU_DEP_1)
	v_fma_mixlo_f16 v35, v5, v27, v34 op_sel_hi:[0,1,1]
.LBB35_119:                             ;   in Loop: Header=BB35_83 Depth=2
	s_or_b32 exec_lo, exec_lo, s18
	s_cbranch_execnz .LBB35_121
.LBB35_120:                             ;   in Loop: Header=BB35_83 Depth=2
	s_delay_alu instid0(VALU_DEP_1) | instskip(NEXT) | instid1(VALU_DEP_1)
	v_bfe_i32 v3, v3, 0, 8
	v_bfe_i32 v3, v3, 0, 16
	s_delay_alu instid0(VALU_DEP_1) | instskip(NEXT) | instid1(VALU_DEP_1)
	v_cvt_f32_i32_e32 v3, v3
	v_fma_mixlo_f16 v35, v3, v27, v34 op_sel_hi:[0,1,1]
.LBB35_121:                             ;   in Loop: Header=BB35_83 Depth=2
	v_lshrrev_b32_e32 v3, 24, v4
	s_and_not1_b32 vcc_lo, exec_lo, s28
	s_cbranch_vccnz .LBB35_189
; %bb.122:                              ;   in Loop: Header=BB35_83 Depth=2
	s_delay_alu instid0(VALU_DEP_1) | instskip(SKIP_2) | instid1(VALU_DEP_2)
	v_cmp_ne_u16_e32 vcc_lo, 0, v3
	v_cmp_neq_f16_e64 s18, 0, v27
	v_mov_b32_e32 v36, v32
	s_and_b32 s83, vcc_lo, s18
	s_delay_alu instid0(SALU_CYCLE_1)
	s_and_saveexec_b32 s18, s83
	s_cbranch_execz .LBB35_124
; %bb.123:                              ;   in Loop: Header=BB35_83 Depth=2
	ds_load_u16 v4, v11 offset:14
	s_waitcnt lgkmcnt(0)
	v_cvt_f32_f16_e32 v4, v4
	s_delay_alu instid0(VALU_DEP_1) | instskip(NEXT) | instid1(VALU_DEP_1)
	v_div_scale_f32 v5, null, 0x42fe0000, 0x42fe0000, v4
	v_rcp_f32_e32 v6, v5
	s_waitcnt_depctr 0xfff
	v_fma_f32 v34, -v5, v6, 1.0
	s_delay_alu instid0(VALU_DEP_1) | instskip(SKIP_1) | instid1(VALU_DEP_1)
	v_fmac_f32_e32 v6, v34, v6
	v_div_scale_f32 v34, vcc_lo, v4, 0x42fe0000, v4
	v_mul_f32_e32 v36, v34, v6
	s_delay_alu instid0(VALU_DEP_1) | instskip(NEXT) | instid1(VALU_DEP_1)
	v_fma_f32 v37, -v5, v36, v34
	v_fmac_f32_e32 v36, v37, v6
	v_bfe_i32 v37, v3, 0, 8
	s_delay_alu instid0(VALU_DEP_2) | instskip(NEXT) | instid1(VALU_DEP_2)
	v_fma_f32 v5, -v5, v36, v34
	v_bfe_i32 v34, v37, 0, 16
	s_delay_alu instid0(VALU_DEP_2) | instskip(NEXT) | instid1(VALU_DEP_2)
	v_div_fmas_f32 v5, v5, v6, v36
	v_cvt_f32_i32_e32 v6, v34
	s_delay_alu instid0(VALU_DEP_2) | instskip(NEXT) | instid1(VALU_DEP_1)
	v_div_fixup_f32 v4, v5, 0x42fe0000, v4
	v_mul_f32_e32 v4, v4, v6
	s_delay_alu instid0(VALU_DEP_1)
	v_fma_mixlo_f16 v36, v4, v27, v32 op_sel_hi:[0,1,1]
.LBB35_124:                             ;   in Loop: Header=BB35_83 Depth=2
	s_or_b32 exec_lo, exec_lo, s18
	s_cbranch_execnz .LBB35_126
.LBB35_125:                             ;   in Loop: Header=BB35_83 Depth=2
	s_delay_alu instid0(VALU_DEP_1) | instskip(NEXT) | instid1(VALU_DEP_1)
	v_bfe_i32 v3, v3, 0, 8
	v_bfe_i32 v3, v3, 0, 16
	s_delay_alu instid0(VALU_DEP_1) | instskip(NEXT) | instid1(VALU_DEP_1)
	v_cvt_f32_i32_e32 v3, v3
	v_fma_mixlo_f16 v36, v3, v27, v32 op_sel_hi:[0,1,1]
.LBB35_126:                             ;   in Loop: Header=BB35_83 Depth=2
	s_and_saveexec_b32 s83, s2
	s_cbranch_execz .LBB35_81
; %bb.127:                              ;   in Loop: Header=BB35_83 Depth=2
                                        ; implicit-def: $vgpr3_vgpr4
	s_and_saveexec_b32 s18, s0
	s_delay_alu instid0(SALU_CYCLE_1)
	s_xor_b32 s18, exec_lo, s18
	s_cbranch_execnz .LBB35_190
; %bb.128:                              ;   in Loop: Header=BB35_83 Depth=2
	s_and_not1_saveexec_b32 s18, s18
	s_cbranch_execnz .LBB35_203
.LBB35_129:                             ;   in Loop: Header=BB35_83 Depth=2
	s_or_b32 exec_lo, exec_lo, s18
	s_delay_alu instid0(SALU_CYCLE_1)
	s_and_not1_b32 vcc_lo, exec_lo, s28
	s_cbranch_vccnz .LBB35_204
.LBB35_130:                             ;   in Loop: Header=BB35_83 Depth=2
	s_waitcnt vmcnt(0)
	v_dual_mov_b32 v32, v25 :: v_dual_and_b32 v5, 0xff, v3
	v_cmp_neq_f16_e64 s18, 0, v27
	s_delay_alu instid0(VALU_DEP_2) | instskip(NEXT) | instid1(VALU_DEP_2)
	v_cmp_ne_u16_e32 vcc_lo, 0, v5
	s_and_b32 s84, vcc_lo, s18
	s_delay_alu instid0(SALU_CYCLE_1)
	s_and_saveexec_b32 s18, s84
	s_cbranch_execz .LBB35_132
; %bb.131:                              ;   in Loop: Header=BB35_83 Depth=2
	ds_load_u16 v5, v11 offset:16
	s_waitcnt lgkmcnt(0)
	v_cvt_f32_f16_e32 v5, v5
	s_delay_alu instid0(VALU_DEP_1) | instskip(NEXT) | instid1(VALU_DEP_1)
	v_div_scale_f32 v6, null, 0x42fe0000, 0x42fe0000, v5
	v_rcp_f32_e32 v32, v6
	s_waitcnt_depctr 0xfff
	v_fma_f32 v34, -v6, v32, 1.0
	s_delay_alu instid0(VALU_DEP_1) | instskip(SKIP_1) | instid1(VALU_DEP_1)
	v_fmac_f32_e32 v32, v34, v32
	v_div_scale_f32 v34, vcc_lo, v5, 0x42fe0000, v5
	v_mul_f32_e32 v37, v34, v32
	s_delay_alu instid0(VALU_DEP_1) | instskip(NEXT) | instid1(VALU_DEP_1)
	v_fma_f32 v38, -v6, v37, v34
	v_fmac_f32_e32 v37, v38, v32
	v_bfe_i32 v38, v3, 0, 8
	s_delay_alu instid0(VALU_DEP_2) | instskip(NEXT) | instid1(VALU_DEP_2)
	v_fma_f32 v6, -v6, v37, v34
	v_bfe_i32 v34, v38, 0, 16
	s_delay_alu instid0(VALU_DEP_2) | instskip(NEXT) | instid1(VALU_DEP_2)
	v_div_fmas_f32 v6, v6, v32, v37
	v_cvt_f32_i32_e32 v32, v34
	s_delay_alu instid0(VALU_DEP_2) | instskip(NEXT) | instid1(VALU_DEP_1)
	v_div_fixup_f32 v5, v6, 0x42fe0000, v5
	v_mul_f32_e32 v5, v5, v32
	s_delay_alu instid0(VALU_DEP_1)
	v_fma_mixlo_f16 v32, v5, v27, v25 op_sel_hi:[0,1,1]
.LBB35_132:                             ;   in Loop: Header=BB35_83 Depth=2
	s_or_b32 exec_lo, exec_lo, s18
	s_cbranch_execnz .LBB35_134
.LBB35_133:                             ;   in Loop: Header=BB35_83 Depth=2
	s_waitcnt vmcnt(0)
	v_bfe_i32 v5, v3, 0, 8
	s_delay_alu instid0(VALU_DEP_1) | instskip(NEXT) | instid1(VALU_DEP_1)
	v_bfe_i32 v5, v5, 0, 16
	v_cvt_f32_i32_e32 v5, v5
	s_delay_alu instid0(VALU_DEP_1)
	v_fma_mixlo_f16 v32, v5, v27, v25 op_sel_hi:[0,1,1]
.LBB35_134:                             ;   in Loop: Header=BB35_83 Depth=2
	s_waitcnt vmcnt(0)
	v_lshrrev_b32_e32 v5, 8, v3
	s_and_not1_b32 vcc_lo, exec_lo, s28
	s_cbranch_vccnz .LBB35_207
; %bb.135:                              ;   in Loop: Header=BB35_83 Depth=2
	s_delay_alu instid0(VALU_DEP_1) | instskip(SKIP_2) | instid1(VALU_DEP_3)
	v_and_b32_e32 v6, 0xff, v5
	v_cmp_neq_f16_e64 s18, 0, v27
	v_mov_b32_e32 v34, v24
	v_cmp_ne_u16_e32 vcc_lo, 0, v6
	s_delay_alu instid0(VALU_DEP_3) | instskip(NEXT) | instid1(SALU_CYCLE_1)
	s_and_b32 s84, vcc_lo, s18
	s_and_saveexec_b32 s18, s84
	s_cbranch_execz .LBB35_137
; %bb.136:                              ;   in Loop: Header=BB35_83 Depth=2
	ds_load_u16 v6, v11 offset:18
	s_waitcnt lgkmcnt(0)
	v_cvt_f32_f16_e32 v6, v6
	s_delay_alu instid0(VALU_DEP_1) | instskip(NEXT) | instid1(VALU_DEP_1)
	v_div_scale_f32 v25, null, 0x42fe0000, 0x42fe0000, v6
	v_rcp_f32_e32 v34, v25
	s_waitcnt_depctr 0xfff
	v_fma_f32 v37, -v25, v34, 1.0
	s_delay_alu instid0(VALU_DEP_1) | instskip(SKIP_1) | instid1(VALU_DEP_1)
	v_fmac_f32_e32 v34, v37, v34
	v_div_scale_f32 v37, vcc_lo, v6, 0x42fe0000, v6
	v_mul_f32_e32 v38, v37, v34
	s_delay_alu instid0(VALU_DEP_1) | instskip(NEXT) | instid1(VALU_DEP_1)
	v_fma_f32 v39, -v25, v38, v37
	v_fmac_f32_e32 v38, v39, v34
	v_bfe_i32 v39, v5, 0, 8
	s_delay_alu instid0(VALU_DEP_2) | instskip(NEXT) | instid1(VALU_DEP_2)
	v_fma_f32 v25, -v25, v38, v37
	v_bfe_i32 v37, v39, 0, 16
	s_delay_alu instid0(VALU_DEP_2) | instskip(NEXT) | instid1(VALU_DEP_2)
	v_div_fmas_f32 v25, v25, v34, v38
	v_cvt_f32_i32_e32 v34, v37
	s_delay_alu instid0(VALU_DEP_2) | instskip(NEXT) | instid1(VALU_DEP_1)
	v_div_fixup_f32 v6, v25, 0x42fe0000, v6
	v_mul_f32_e32 v6, v6, v34
	s_delay_alu instid0(VALU_DEP_1)
	v_fma_mixlo_f16 v34, v6, v27, v24 op_sel_hi:[0,1,1]
.LBB35_137:                             ;   in Loop: Header=BB35_83 Depth=2
	s_or_b32 exec_lo, exec_lo, s18
	s_cbranch_execnz .LBB35_139
.LBB35_138:                             ;   in Loop: Header=BB35_83 Depth=2
	s_delay_alu instid0(VALU_DEP_1) | instskip(NEXT) | instid1(VALU_DEP_1)
	v_bfe_i32 v5, v5, 0, 8
	v_bfe_i32 v5, v5, 0, 16
	s_delay_alu instid0(VALU_DEP_1) | instskip(NEXT) | instid1(VALU_DEP_1)
	v_cvt_f32_i32_e32 v5, v5
	v_fma_mixlo_f16 v34, v5, v27, v24 op_sel_hi:[0,1,1]
.LBB35_139:                             ;   in Loop: Header=BB35_83 Depth=2
	v_lshrrev_b32_e32 v5, 16, v3
	s_and_not1_b32 vcc_lo, exec_lo, s28
	s_cbranch_vccnz .LBB35_208
; %bb.140:                              ;   in Loop: Header=BB35_83 Depth=2
	s_delay_alu instid0(VALU_DEP_1) | instskip(SKIP_1) | instid1(VALU_DEP_2)
	v_dual_mov_b32 v37, v23 :: v_dual_and_b32 v6, 0xff, v5
	v_cmp_neq_f16_e64 s18, 0, v27
	v_cmp_ne_u16_e32 vcc_lo, 0, v6
	s_delay_alu instid0(VALU_DEP_2) | instskip(NEXT) | instid1(SALU_CYCLE_1)
	s_and_b32 s84, vcc_lo, s18
	s_and_saveexec_b32 s18, s84
	s_cbranch_execz .LBB35_142
; %bb.141:                              ;   in Loop: Header=BB35_83 Depth=2
	ds_load_u16 v6, v11 offset:20
	s_waitcnt lgkmcnt(0)
	v_cvt_f32_f16_e32 v6, v6
	s_delay_alu instid0(VALU_DEP_1) | instskip(NEXT) | instid1(VALU_DEP_1)
	v_div_scale_f32 v24, null, 0x42fe0000, 0x42fe0000, v6
	v_rcp_f32_e32 v25, v24
	s_waitcnt_depctr 0xfff
	v_fma_f32 v37, -v24, v25, 1.0
	s_delay_alu instid0(VALU_DEP_1) | instskip(SKIP_1) | instid1(VALU_DEP_1)
	v_fmac_f32_e32 v25, v37, v25
	v_div_scale_f32 v37, vcc_lo, v6, 0x42fe0000, v6
	v_mul_f32_e32 v38, v37, v25
	s_delay_alu instid0(VALU_DEP_1) | instskip(NEXT) | instid1(VALU_DEP_1)
	v_fma_f32 v39, -v24, v38, v37
	v_fmac_f32_e32 v38, v39, v25
	v_bfe_i32 v39, v5, 0, 8
	s_delay_alu instid0(VALU_DEP_2) | instskip(NEXT) | instid1(VALU_DEP_2)
	v_fma_f32 v24, -v24, v38, v37
	v_bfe_i32 v37, v39, 0, 16
	s_delay_alu instid0(VALU_DEP_2) | instskip(NEXT) | instid1(VALU_DEP_2)
	v_div_fmas_f32 v24, v24, v25, v38
	v_cvt_f32_i32_e32 v25, v37
	s_delay_alu instid0(VALU_DEP_2) | instskip(NEXT) | instid1(VALU_DEP_1)
	v_div_fixup_f32 v6, v24, 0x42fe0000, v6
	v_mul_f32_e32 v6, v6, v25
	s_delay_alu instid0(VALU_DEP_1)
	v_fma_mixlo_f16 v37, v6, v27, v23 op_sel_hi:[0,1,1]
.LBB35_142:                             ;   in Loop: Header=BB35_83 Depth=2
	s_or_b32 exec_lo, exec_lo, s18
	s_cbranch_execnz .LBB35_144
.LBB35_143:                             ;   in Loop: Header=BB35_83 Depth=2
	s_delay_alu instid0(VALU_DEP_1) | instskip(NEXT) | instid1(VALU_DEP_1)
	v_bfe_i32 v5, v5, 0, 8
	v_bfe_i32 v5, v5, 0, 16
	s_delay_alu instid0(VALU_DEP_1) | instskip(NEXT) | instid1(VALU_DEP_1)
	v_cvt_f32_i32_e32 v5, v5
	v_fma_mixlo_f16 v37, v5, v27, v23 op_sel_hi:[0,1,1]
.LBB35_144:                             ;   in Loop: Header=BB35_83 Depth=2
	s_and_not1_b32 vcc_lo, exec_lo, s28
	s_cbranch_vccnz .LBB35_209
; %bb.145:                              ;   in Loop: Header=BB35_83 Depth=2
	v_lshrrev_b64 v[5:6], 24, v[3:4]
	v_cmp_neq_f16_e64 s18, 0, v27
	s_delay_alu instid0(VALU_DEP_2) | instskip(NEXT) | instid1(VALU_DEP_1)
	v_and_b32_e32 v6, 0xff, v5
	v_cmp_ne_u16_e32 vcc_lo, 0, v6
	v_mov_b32_e32 v6, v19
	s_delay_alu instid0(VALU_DEP_4) | instskip(NEXT) | instid1(SALU_CYCLE_1)
	s_and_b32 s84, vcc_lo, s18
	s_and_saveexec_b32 s18, s84
	s_cbranch_execz .LBB35_147
; %bb.146:                              ;   in Loop: Header=BB35_83 Depth=2
	ds_load_u16 v6, v11 offset:22
	v_bfe_i32 v5, v5, 0, 8
	s_delay_alu instid0(VALU_DEP_1) | instskip(NEXT) | instid1(VALU_DEP_1)
	v_bfe_i32 v5, v5, 0, 16
	v_cvt_f32_i32_e32 v5, v5
	s_waitcnt lgkmcnt(0)
	v_cvt_f32_f16_e32 v6, v6
	s_delay_alu instid0(VALU_DEP_1) | instskip(NEXT) | instid1(VALU_DEP_1)
	v_div_scale_f32 v23, null, 0x42fe0000, 0x42fe0000, v6
	v_rcp_f32_e32 v24, v23
	s_waitcnt_depctr 0xfff
	v_fma_f32 v25, -v23, v24, 1.0
	s_delay_alu instid0(VALU_DEP_1) | instskip(SKIP_1) | instid1(VALU_DEP_1)
	v_fmac_f32_e32 v24, v25, v24
	v_div_scale_f32 v25, vcc_lo, v6, 0x42fe0000, v6
	v_mul_f32_e32 v38, v25, v24
	s_delay_alu instid0(VALU_DEP_1) | instskip(NEXT) | instid1(VALU_DEP_1)
	v_fma_f32 v39, -v23, v38, v25
	v_fmac_f32_e32 v38, v39, v24
	s_delay_alu instid0(VALU_DEP_1) | instskip(NEXT) | instid1(VALU_DEP_1)
	v_fma_f32 v23, -v23, v38, v25
	v_div_fmas_f32 v23, v23, v24, v38
	s_delay_alu instid0(VALU_DEP_1) | instskip(NEXT) | instid1(VALU_DEP_1)
	v_div_fixup_f32 v6, v23, 0x42fe0000, v6
	v_mul_f32_e32 v5, v6, v5
	s_delay_alu instid0(VALU_DEP_1)
	v_fma_mixlo_f16 v6, v5, v27, v19 op_sel_hi:[0,1,1]
.LBB35_147:                             ;   in Loop: Header=BB35_83 Depth=2
	s_or_b32 exec_lo, exec_lo, s18
	s_cbranch_execnz .LBB35_149
.LBB35_148:                             ;   in Loop: Header=BB35_83 Depth=2
	v_lshrrev_b32_e32 v3, 24, v3
	s_delay_alu instid0(VALU_DEP_1) | instskip(NEXT) | instid1(VALU_DEP_1)
	v_bfe_i32 v3, v3, 0, 8
	v_bfe_i32 v3, v3, 0, 16
	s_delay_alu instid0(VALU_DEP_1) | instskip(NEXT) | instid1(VALU_DEP_1)
	v_cvt_f32_i32_e32 v3, v3
	v_fma_mixlo_f16 v6, v3, v27, v19 op_sel_hi:[0,1,1]
.LBB35_149:                             ;   in Loop: Header=BB35_83 Depth=2
	s_and_not1_b32 vcc_lo, exec_lo, s28
	s_cbranch_vccnz .LBB35_210
; %bb.150:                              ;   in Loop: Header=BB35_83 Depth=2
	v_and_b32_e32 v3, 0xff, v4
	v_cmp_neq_f16_e64 s18, 0, v27
	s_delay_alu instid0(VALU_DEP_2) | instskip(SKIP_1) | instid1(VALU_DEP_3)
	v_cmp_ne_u16_e32 vcc_lo, 0, v3
	v_mov_b32_e32 v3, v18
	s_and_b32 s84, vcc_lo, s18
	s_delay_alu instid0(SALU_CYCLE_1)
	s_and_saveexec_b32 s18, s84
	s_cbranch_execz .LBB35_152
; %bb.151:                              ;   in Loop: Header=BB35_83 Depth=2
	ds_load_u16 v3, v11 offset:24
	s_waitcnt lgkmcnt(0)
	v_cvt_f32_f16_e32 v3, v3
	s_delay_alu instid0(VALU_DEP_1) | instskip(NEXT) | instid1(VALU_DEP_1)
	v_div_scale_f32 v5, null, 0x42fe0000, 0x42fe0000, v3
	v_rcp_f32_e32 v19, v5
	s_waitcnt_depctr 0xfff
	v_fma_f32 v23, -v5, v19, 1.0
	s_delay_alu instid0(VALU_DEP_1) | instskip(SKIP_1) | instid1(VALU_DEP_1)
	v_fmac_f32_e32 v19, v23, v19
	v_div_scale_f32 v23, vcc_lo, v3, 0x42fe0000, v3
	v_mul_f32_e32 v24, v23, v19
	s_delay_alu instid0(VALU_DEP_1) | instskip(NEXT) | instid1(VALU_DEP_1)
	v_fma_f32 v25, -v5, v24, v23
	v_fmac_f32_e32 v24, v25, v19
	v_bfe_i32 v25, v4, 0, 8
	s_delay_alu instid0(VALU_DEP_2) | instskip(NEXT) | instid1(VALU_DEP_2)
	v_fma_f32 v5, -v5, v24, v23
	v_bfe_i32 v23, v25, 0, 16
	s_delay_alu instid0(VALU_DEP_2) | instskip(NEXT) | instid1(VALU_DEP_2)
	v_div_fmas_f32 v5, v5, v19, v24
	v_cvt_f32_i32_e32 v19, v23
	s_delay_alu instid0(VALU_DEP_2) | instskip(NEXT) | instid1(VALU_DEP_1)
	v_div_fixup_f32 v3, v5, 0x42fe0000, v3
	v_mul_f32_e32 v3, v3, v19
	s_delay_alu instid0(VALU_DEP_1)
	v_fma_mixlo_f16 v3, v3, v27, v18 op_sel_hi:[0,1,1]
.LBB35_152:                             ;   in Loop: Header=BB35_83 Depth=2
	s_or_b32 exec_lo, exec_lo, s18
	s_cbranch_execnz .LBB35_154
.LBB35_153:                             ;   in Loop: Header=BB35_83 Depth=2
	v_bfe_i32 v3, v4, 0, 8
	s_delay_alu instid0(VALU_DEP_1) | instskip(NEXT) | instid1(VALU_DEP_1)
	v_bfe_i32 v3, v3, 0, 16
	v_cvt_f32_i32_e32 v3, v3
	s_delay_alu instid0(VALU_DEP_1)
	v_fma_mixlo_f16 v3, v3, v27, v18 op_sel_hi:[0,1,1]
.LBB35_154:                             ;   in Loop: Header=BB35_83 Depth=2
	v_lshrrev_b32_e32 v18, 8, v4
	s_and_not1_b32 vcc_lo, exec_lo, s28
	s_cbranch_vccnz .LBB35_211
; %bb.155:                              ;   in Loop: Header=BB35_83 Depth=2
	s_delay_alu instid0(VALU_DEP_1) | instskip(SKIP_1) | instid1(VALU_DEP_2)
	v_and_b32_e32 v5, 0xff, v18
	v_cmp_neq_f16_e64 s18, 0, v27
	v_cmp_ne_u16_e32 vcc_lo, 0, v5
	v_mov_b32_e32 v5, v17
	s_delay_alu instid0(VALU_DEP_3) | instskip(NEXT) | instid1(SALU_CYCLE_1)
	s_and_b32 s84, vcc_lo, s18
	s_and_saveexec_b32 s18, s84
	s_cbranch_execz .LBB35_157
; %bb.156:                              ;   in Loop: Header=BB35_83 Depth=2
	ds_load_u16 v5, v11 offset:26
	s_waitcnt lgkmcnt(0)
	v_cvt_f32_f16_e32 v5, v5
	s_delay_alu instid0(VALU_DEP_1) | instskip(NEXT) | instid1(VALU_DEP_1)
	v_div_scale_f32 v19, null, 0x42fe0000, 0x42fe0000, v5
	v_rcp_f32_e32 v23, v19
	s_waitcnt_depctr 0xfff
	v_fma_f32 v24, -v19, v23, 1.0
	s_delay_alu instid0(VALU_DEP_1) | instskip(SKIP_1) | instid1(VALU_DEP_1)
	v_fmac_f32_e32 v23, v24, v23
	v_div_scale_f32 v24, vcc_lo, v5, 0x42fe0000, v5
	v_mul_f32_e32 v25, v24, v23
	s_delay_alu instid0(VALU_DEP_1) | instskip(NEXT) | instid1(VALU_DEP_1)
	v_fma_f32 v38, -v19, v25, v24
	v_fmac_f32_e32 v25, v38, v23
	v_bfe_i32 v38, v18, 0, 8
	s_delay_alu instid0(VALU_DEP_2) | instskip(NEXT) | instid1(VALU_DEP_2)
	v_fma_f32 v19, -v19, v25, v24
	v_bfe_i32 v24, v38, 0, 16
	s_delay_alu instid0(VALU_DEP_2) | instskip(NEXT) | instid1(VALU_DEP_2)
	v_div_fmas_f32 v19, v19, v23, v25
	v_cvt_f32_i32_e32 v23, v24
	s_delay_alu instid0(VALU_DEP_2) | instskip(NEXT) | instid1(VALU_DEP_1)
	v_div_fixup_f32 v5, v19, 0x42fe0000, v5
	v_mul_f32_e32 v5, v5, v23
	s_delay_alu instid0(VALU_DEP_1)
	v_fma_mixlo_f16 v5, v5, v27, v17 op_sel_hi:[0,1,1]
.LBB35_157:                             ;   in Loop: Header=BB35_83 Depth=2
	s_or_b32 exec_lo, exec_lo, s18
	s_cbranch_execnz .LBB35_159
.LBB35_158:                             ;   in Loop: Header=BB35_83 Depth=2
	s_delay_alu instid0(VALU_DEP_1) | instskip(NEXT) | instid1(VALU_DEP_1)
	v_bfe_i32 v5, v18, 0, 8
	v_bfe_i32 v5, v5, 0, 16
	s_delay_alu instid0(VALU_DEP_1) | instskip(NEXT) | instid1(VALU_DEP_1)
	v_cvt_f32_i32_e32 v5, v5
	v_fma_mixlo_f16 v5, v5, v27, v17 op_sel_hi:[0,1,1]
.LBB35_159:                             ;   in Loop: Header=BB35_83 Depth=2
	v_lshrrev_b32_e32 v17, 16, v4
	s_and_not1_b32 vcc_lo, exec_lo, s28
	s_cbranch_vccnz .LBB35_212
; %bb.160:                              ;   in Loop: Header=BB35_83 Depth=2
	s_delay_alu instid0(VALU_DEP_1) | instskip(SKIP_2) | instid1(VALU_DEP_3)
	v_and_b32_e32 v18, 0xff, v17
	v_cmp_neq_f16_e64 s18, 0, v27
	v_mov_b32_e32 v38, v16
	v_cmp_ne_u16_e32 vcc_lo, 0, v18
	s_delay_alu instid0(VALU_DEP_3) | instskip(NEXT) | instid1(SALU_CYCLE_1)
	s_and_b32 s84, vcc_lo, s18
	s_and_saveexec_b32 s18, s84
	s_cbranch_execz .LBB35_162
; %bb.161:                              ;   in Loop: Header=BB35_83 Depth=2
	ds_load_u16 v18, v11 offset:28
	s_waitcnt lgkmcnt(0)
	v_cvt_f32_f16_e32 v18, v18
	s_delay_alu instid0(VALU_DEP_1) | instskip(NEXT) | instid1(VALU_DEP_1)
	v_div_scale_f32 v19, null, 0x42fe0000, 0x42fe0000, v18
	v_rcp_f32_e32 v23, v19
	s_waitcnt_depctr 0xfff
	v_fma_f32 v24, -v19, v23, 1.0
	s_delay_alu instid0(VALU_DEP_1) | instskip(SKIP_1) | instid1(VALU_DEP_1)
	v_fmac_f32_e32 v23, v24, v23
	v_div_scale_f32 v24, vcc_lo, v18, 0x42fe0000, v18
	v_mul_f32_e32 v25, v24, v23
	s_delay_alu instid0(VALU_DEP_1) | instskip(NEXT) | instid1(VALU_DEP_1)
	v_fma_f32 v38, -v19, v25, v24
	v_fmac_f32_e32 v25, v38, v23
	v_bfe_i32 v38, v17, 0, 8
	s_delay_alu instid0(VALU_DEP_2) | instskip(NEXT) | instid1(VALU_DEP_2)
	v_fma_f32 v19, -v19, v25, v24
	v_bfe_i32 v24, v38, 0, 16
	s_delay_alu instid0(VALU_DEP_2) | instskip(NEXT) | instid1(VALU_DEP_2)
	v_div_fmas_f32 v19, v19, v23, v25
	v_cvt_f32_i32_e32 v23, v24
	s_delay_alu instid0(VALU_DEP_2) | instskip(NEXT) | instid1(VALU_DEP_1)
	v_div_fixup_f32 v18, v19, 0x42fe0000, v18
	v_mul_f32_e32 v18, v18, v23
	s_delay_alu instid0(VALU_DEP_1)
	v_fma_mixlo_f16 v38, v18, v27, v16 op_sel_hi:[0,1,1]
.LBB35_162:                             ;   in Loop: Header=BB35_83 Depth=2
	s_or_b32 exec_lo, exec_lo, s18
	s_cbranch_execnz .LBB35_164
.LBB35_163:                             ;   in Loop: Header=BB35_83 Depth=2
	s_delay_alu instid0(VALU_DEP_1) | instskip(NEXT) | instid1(VALU_DEP_1)
	v_bfe_i32 v17, v17, 0, 8
	v_bfe_i32 v17, v17, 0, 16
	s_delay_alu instid0(VALU_DEP_1) | instskip(NEXT) | instid1(VALU_DEP_1)
	v_cvt_f32_i32_e32 v17, v17
	v_fma_mixlo_f16 v38, v17, v27, v16 op_sel_hi:[0,1,1]
.LBB35_164:                             ;   in Loop: Header=BB35_83 Depth=2
	v_lshrrev_b32_e32 v16, 24, v4
	s_and_not1_b32 vcc_lo, exec_lo, s28
	s_cbranch_vccnz .LBB35_213
; %bb.165:                              ;   in Loop: Header=BB35_83 Depth=2
	s_delay_alu instid0(VALU_DEP_1) | instskip(SKIP_2) | instid1(VALU_DEP_2)
	v_cmp_ne_u16_e32 vcc_lo, 0, v16
	v_cmp_neq_f16_e64 s18, 0, v27
	v_mov_b32_e32 v4, v13
	s_and_b32 s84, vcc_lo, s18
	s_delay_alu instid0(SALU_CYCLE_1)
	s_and_saveexec_b32 s18, s84
	s_cbranch_execz .LBB35_167
; %bb.166:                              ;   in Loop: Header=BB35_83 Depth=2
	ds_load_u16 v4, v11 offset:30
	s_waitcnt lgkmcnt(0)
	v_cvt_f32_f16_e32 v4, v4
	s_delay_alu instid0(VALU_DEP_1) | instskip(NEXT) | instid1(VALU_DEP_1)
	v_div_scale_f32 v17, null, 0x42fe0000, 0x42fe0000, v4
	v_rcp_f32_e32 v18, v17
	s_waitcnt_depctr 0xfff
	v_fma_f32 v19, -v17, v18, 1.0
	s_delay_alu instid0(VALU_DEP_1) | instskip(SKIP_1) | instid1(VALU_DEP_1)
	v_fmac_f32_e32 v18, v19, v18
	v_div_scale_f32 v19, vcc_lo, v4, 0x42fe0000, v4
	v_mul_f32_e32 v23, v19, v18
	s_delay_alu instid0(VALU_DEP_1) | instskip(NEXT) | instid1(VALU_DEP_1)
	v_fma_f32 v24, -v17, v23, v19
	v_fmac_f32_e32 v23, v24, v18
	v_bfe_i32 v24, v16, 0, 8
	s_delay_alu instid0(VALU_DEP_2) | instskip(NEXT) | instid1(VALU_DEP_2)
	v_fma_f32 v17, -v17, v23, v19
	v_bfe_i32 v19, v24, 0, 16
	s_delay_alu instid0(VALU_DEP_2) | instskip(NEXT) | instid1(VALU_DEP_2)
	v_div_fmas_f32 v17, v17, v18, v23
	v_cvt_f32_i32_e32 v18, v19
	s_delay_alu instid0(VALU_DEP_2) | instskip(NEXT) | instid1(VALU_DEP_1)
	v_div_fixup_f32 v4, v17, 0x42fe0000, v4
	v_mul_f32_e32 v4, v4, v18
	s_delay_alu instid0(VALU_DEP_1)
	v_fma_mixlo_f16 v4, v4, v27, v13 op_sel_hi:[0,1,1]
.LBB35_167:                             ;   in Loop: Header=BB35_83 Depth=2
	s_or_b32 exec_lo, exec_lo, s18
	s_cbranch_execnz .LBB35_80
	s_branch .LBB35_214
.LBB35_168:                             ;   in Loop: Header=BB35_83 Depth=2
	s_delay_alu instid0(VALU_DEP_1) | instskip(SKIP_3) | instid1(VALU_DEP_4)
	v_ashrrev_i32_e32 v4, 31, v26
	v_add_co_u32 v3, vcc_lo, s20, v26
	v_mov_b32_e32 v26, 0
	v_mov_b32_e32 v28, 0
	v_add_co_ci_u32_e32 v4, vcc_lo, s21, v4, vcc_lo
	global_load_u8 v27, v[3:4], off
	s_and_saveexec_b32 s83, s4
	s_cbranch_execz .LBB35_170
; %bb.169:                              ;   in Loop: Header=BB35_83 Depth=2
	global_load_u8 v28, v[3:4], off offset:1
.LBB35_170:                             ;   in Loop: Header=BB35_83 Depth=2
	s_or_b32 exec_lo, exec_lo, s83
	s_and_saveexec_b32 s83, s5
	s_cbranch_execz .LBB35_172
; %bb.171:                              ;   in Loop: Header=BB35_83 Depth=2
	global_load_u8 v26, v[3:4], off offset:2
.LBB35_172:                             ;   in Loop: Header=BB35_83 Depth=2
	s_or_b32 exec_lo, exec_lo, s83
	v_dual_mov_b32 v30, 0 :: v_dual_mov_b32 v29, 0
	s_and_saveexec_b32 s83, s6
	s_cbranch_execz .LBB35_174
; %bb.173:                              ;   in Loop: Header=BB35_83 Depth=2
	global_load_u8 v29, v[3:4], off offset:3
.LBB35_174:                             ;   in Loop: Header=BB35_83 Depth=2
	s_or_b32 exec_lo, exec_lo, s83
	s_and_saveexec_b32 s83, s7
	s_cbranch_execz .LBB35_176
; %bb.175:                              ;   in Loop: Header=BB35_83 Depth=2
	global_load_u8 v30, v[3:4], off offset:4
.LBB35_176:                             ;   in Loop: Header=BB35_83 Depth=2
	s_or_b32 exec_lo, exec_lo, s83
	v_mov_b32_e32 v31, 0
	v_mov_b32_e32 v33, 0
	s_and_saveexec_b32 s83, s8
	s_cbranch_execnz .LBB35_205
; %bb.177:                              ;   in Loop: Header=BB35_83 Depth=2
	s_or_b32 exec_lo, exec_lo, s83
	s_and_saveexec_b32 s83, s9
	s_cbranch_execnz .LBB35_206
.LBB35_178:                             ;   in Loop: Header=BB35_83 Depth=2
	s_or_b32 exec_lo, exec_lo, s83
	v_mov_b32_e32 v35, 0
	s_and_saveexec_b32 s83, s10
	s_cbranch_execz .LBB35_180
.LBB35_179:                             ;   in Loop: Header=BB35_83 Depth=2
	global_load_u8 v35, v[3:4], off offset:7
.LBB35_180:                             ;   in Loop: Header=BB35_83 Depth=2
	s_or_b32 exec_lo, exec_lo, s83
	s_waitcnt vmcnt(0)
	v_lshlrev_b16 v3, 8, v33
	v_and_b32_e32 v4, 0xff, v30
	v_lshlrev_b16 v30, 8, v35
	v_and_b32_e32 v31, 0xff, v31
	;; [unrolled: 2-line block ×4, first 2 shown]
	v_or_b32_e32 v3, v4, v3
	v_or_b32_e32 v4, v31, v30
	;; [unrolled: 1-line block ×3, first 2 shown]
	s_delay_alu instid0(VALU_DEP_4) | instskip(NEXT) | instid1(VALU_DEP_4)
	v_or_b32_e32 v26, v26, v29
	v_and_b32_e32 v3, 0xffff, v3
	s_delay_alu instid0(VALU_DEP_4) | instskip(NEXT) | instid1(VALU_DEP_4)
	v_lshlrev_b32_e32 v4, 16, v4
	v_and_b32_e32 v27, 0xffff, v27
	s_delay_alu instid0(VALU_DEP_4) | instskip(NEXT) | instid1(VALU_DEP_3)
	v_lshlrev_b32_e32 v26, 16, v26
	v_or_b32_e32 v4, v3, v4
	s_delay_alu instid0(VALU_DEP_2)
	v_or_b32_e32 v3, v27, v26
                                        ; implicit-def: $vgpr26
	s_and_not1_saveexec_b32 s18, s18
	s_cbranch_execz .LBB35_86
.LBB35_181:                             ;   in Loop: Header=BB35_83 Depth=2
	v_ashrrev_i32_e32 v3, 31, v26
	s_delay_alu instid0(VALU_DEP_1) | instskip(NEXT) | instid1(VALU_DEP_1)
	v_lshrrev_b32_e32 v3, 29, v3
	v_add_nc_u32_e32 v3, v26, v3
	s_delay_alu instid0(VALU_DEP_1) | instskip(NEXT) | instid1(VALU_DEP_1)
	v_ashrrev_i32_e32 v3, 3, v3
	v_ashrrev_i32_e32 v4, 31, v3
	s_delay_alu instid0(VALU_DEP_1) | instskip(NEXT) | instid1(VALU_DEP_1)
	v_lshlrev_b64 v[3:4], 3, v[3:4]
	v_add_co_u32 v3, vcc_lo, s20, v3
	s_delay_alu instid0(VALU_DEP_2) | instskip(SKIP_2) | instid1(SALU_CYCLE_1)
	v_add_co_ci_u32_e32 v4, vcc_lo, s21, v4, vcc_lo
	global_load_b64 v[3:4], v[3:4], off
	s_or_b32 exec_lo, exec_lo, s18
	s_and_not1_b32 vcc_lo, exec_lo, s28
	s_cbranch_vccz .LBB35_87
.LBB35_182:                             ;   in Loop: Header=BB35_83 Depth=2
                                        ; implicit-def: $vgpr26
                                        ; implicit-def: $vgpr27
	s_branch .LBB35_90
.LBB35_183:                             ;   in Loop: Header=BB35_83 Depth=2
                                        ; implicit-def: $vgpr28
	s_branch .LBB35_95
.LBB35_184:                             ;   in Loop: Header=BB35_83 Depth=2
                                        ; implicit-def: $vgpr29
	s_branch .LBB35_100
.LBB35_185:                             ;   in Loop: Header=BB35_83 Depth=2
                                        ; implicit-def: $vgpr30
	s_branch .LBB35_105
.LBB35_186:                             ;   in Loop: Header=BB35_83 Depth=2
                                        ; implicit-def: $vgpr31
	s_branch .LBB35_110
.LBB35_187:                             ;   in Loop: Header=BB35_83 Depth=2
                                        ; implicit-def: $vgpr33
	s_branch .LBB35_115
.LBB35_188:                             ;   in Loop: Header=BB35_83 Depth=2
                                        ; implicit-def: $vgpr35
	s_branch .LBB35_120
.LBB35_189:                             ;   in Loop: Header=BB35_83 Depth=2
                                        ; implicit-def: $vgpr36
	s_branch .LBB35_125
.LBB35_190:                             ;   in Loop: Header=BB35_83 Depth=2
	v_ashrrev_i32_e32 v3, 31, v39
	v_add_co_u32 v6, vcc_lo, v12, v39
	v_mov_b32_e32 v5, 0
	s_delay_alu instid0(VALU_DEP_3) | instskip(NEXT) | instid1(VALU_DEP_3)
	v_add_co_ci_u32_e32 v32, vcc_lo, v20, v3, vcc_lo
	v_add_co_u32 v3, vcc_lo, s46, v6
	s_delay_alu instid0(VALU_DEP_2)
	v_add_co_ci_u32_e32 v4, vcc_lo, s47, v32, vcc_lo
	global_load_u8 v3, v[3:4], off
	v_mov_b32_e32 v4, 0
	s_and_saveexec_b32 s84, s11
	s_cbranch_execz .LBB35_192
; %bb.191:                              ;   in Loop: Header=BB35_83 Depth=2
	v_add_co_u32 v37, vcc_lo, s48, v6
	v_add_co_ci_u32_e32 v38, vcc_lo, s49, v32, vcc_lo
	global_load_u8 v5, v[37:38], off
.LBB35_192:                             ;   in Loop: Header=BB35_83 Depth=2
	s_or_b32 exec_lo, exec_lo, s84
	s_and_saveexec_b32 s84, s12
	s_cbranch_execz .LBB35_194
; %bb.193:                              ;   in Loop: Header=BB35_83 Depth=2
	v_add_co_u32 v37, vcc_lo, s50, v6
	v_add_co_ci_u32_e32 v38, vcc_lo, s51, v32, vcc_lo
	global_load_u8 v4, v[37:38], off
.LBB35_194:                             ;   in Loop: Header=BB35_83 Depth=2
	s_or_b32 exec_lo, exec_lo, s84
	v_dual_mov_b32 v37, 0 :: v_dual_mov_b32 v34, 0
	s_and_saveexec_b32 s84, s13
	s_cbranch_execz .LBB35_196
; %bb.195:                              ;   in Loop: Header=BB35_83 Depth=2
	v_add_co_u32 v38, vcc_lo, s52, v6
	v_add_co_ci_u32_e32 v39, vcc_lo, s53, v32, vcc_lo
	global_load_u8 v34, v[38:39], off
.LBB35_196:                             ;   in Loop: Header=BB35_83 Depth=2
	s_or_b32 exec_lo, exec_lo, s84
	s_and_saveexec_b32 s84, s14
	s_cbranch_execz .LBB35_198
; %bb.197:                              ;   in Loop: Header=BB35_83 Depth=2
	v_add_co_u32 v37, vcc_lo, s54, v6
	v_add_co_ci_u32_e32 v38, vcc_lo, s55, v32, vcc_lo
	global_load_u8 v37, v[37:38], off
.LBB35_198:                             ;   in Loop: Header=BB35_83 Depth=2
	s_or_b32 exec_lo, exec_lo, s84
	v_dual_mov_b32 v38, 0 :: v_dual_mov_b32 v39, 0
	s_and_saveexec_b32 s84, s15
	s_cbranch_execnz .LBB35_215
; %bb.199:                              ;   in Loop: Header=BB35_83 Depth=2
	s_or_b32 exec_lo, exec_lo, s84
	s_and_saveexec_b32 s84, s16
	s_cbranch_execnz .LBB35_216
.LBB35_200:                             ;   in Loop: Header=BB35_83 Depth=2
	s_or_b32 exec_lo, exec_lo, s84
	v_mov_b32_e32 v40, 0
	s_and_saveexec_b32 s84, s17
	s_cbranch_execz .LBB35_202
.LBB35_201:                             ;   in Loop: Header=BB35_83 Depth=2
	v_add_co_u32 v40, vcc_lo, s60, v6
	v_add_co_ci_u32_e32 v41, vcc_lo, s61, v32, vcc_lo
	global_load_u8 v40, v[40:41], off
.LBB35_202:                             ;   in Loop: Header=BB35_83 Depth=2
	s_or_b32 exec_lo, exec_lo, s84
	s_waitcnt vmcnt(0)
	v_lshlrev_b16 v6, 8, v39
	v_and_b32_e32 v32, 0xff, v37
	v_lshlrev_b16 v37, 8, v40
	v_and_b32_e32 v38, 0xff, v38
	;; [unrolled: 2-line block ×4, first 2 shown]
	v_or_b32_e32 v6, v32, v6
	v_or_b32_e32 v32, v38, v37
	;; [unrolled: 1-line block ×3, first 2 shown]
                                        ; implicit-def: $vgpr39
	s_delay_alu instid0(VALU_DEP_4) | instskip(NEXT) | instid1(VALU_DEP_4)
	v_or_b32_e32 v4, v4, v34
	v_and_b32_e32 v5, 0xffff, v6
	s_delay_alu instid0(VALU_DEP_4) | instskip(NEXT) | instid1(VALU_DEP_4)
	v_lshlrev_b32_e32 v6, 16, v32
	v_and_b32_e32 v3, 0xffff, v3
	s_delay_alu instid0(VALU_DEP_4) | instskip(NEXT) | instid1(VALU_DEP_3)
	v_lshlrev_b32_e32 v32, 16, v4
	v_or_b32_e32 v4, v5, v6
	s_delay_alu instid0(VALU_DEP_2)
	v_or_b32_e32 v3, v3, v32
	s_and_not1_saveexec_b32 s18, s18
	s_cbranch_execz .LBB35_129
.LBB35_203:                             ;   in Loop: Header=BB35_83 Depth=2
	v_add_nc_u32_e32 v3, v14, v39
	s_delay_alu instid0(VALU_DEP_1) | instskip(NEXT) | instid1(VALU_DEP_1)
	v_ashrrev_i32_e32 v4, 31, v3
	v_lshrrev_b32_e32 v4, 29, v4
	s_delay_alu instid0(VALU_DEP_1) | instskip(NEXT) | instid1(VALU_DEP_1)
	v_add_nc_u32_e32 v3, v3, v4
	v_ashrrev_i32_e32 v3, 3, v3
	s_delay_alu instid0(VALU_DEP_1) | instskip(NEXT) | instid1(VALU_DEP_1)
	v_ashrrev_i32_e32 v4, 31, v3
	v_lshlrev_b64 v[3:4], 3, v[3:4]
	s_delay_alu instid0(VALU_DEP_1) | instskip(NEXT) | instid1(VALU_DEP_2)
	v_add_co_u32 v3, vcc_lo, s20, v3
	v_add_co_ci_u32_e32 v4, vcc_lo, s21, v4, vcc_lo
	global_load_b64 v[3:4], v[3:4], off
	s_or_b32 exec_lo, exec_lo, s18
	s_delay_alu instid0(SALU_CYCLE_1)
	s_and_not1_b32 vcc_lo, exec_lo, s28
	s_cbranch_vccz .LBB35_130
.LBB35_204:                             ;   in Loop: Header=BB35_83 Depth=2
                                        ; implicit-def: $vgpr32
	s_branch .LBB35_133
.LBB35_205:                             ;   in Loop: Header=BB35_83 Depth=2
	global_load_u8 v33, v[3:4], off offset:5
	s_or_b32 exec_lo, exec_lo, s83
	s_and_saveexec_b32 s83, s9
	s_cbranch_execz .LBB35_178
.LBB35_206:                             ;   in Loop: Header=BB35_83 Depth=2
	global_load_u8 v31, v[3:4], off offset:6
	s_or_b32 exec_lo, exec_lo, s83
	v_mov_b32_e32 v35, 0
	s_and_saveexec_b32 s83, s10
	s_cbranch_execnz .LBB35_179
	s_branch .LBB35_180
.LBB35_207:                             ;   in Loop: Header=BB35_83 Depth=2
                                        ; implicit-def: $vgpr34
	s_branch .LBB35_138
.LBB35_208:                             ;   in Loop: Header=BB35_83 Depth=2
                                        ; implicit-def: $vgpr37
	s_branch .LBB35_143
.LBB35_209:                             ;   in Loop: Header=BB35_83 Depth=2
                                        ; implicit-def: $vgpr6
	s_branch .LBB35_148
.LBB35_210:                             ;   in Loop: Header=BB35_83 Depth=2
                                        ; implicit-def: $vgpr3
	s_branch .LBB35_153
.LBB35_211:                             ;   in Loop: Header=BB35_83 Depth=2
                                        ; implicit-def: $vgpr5
	s_branch .LBB35_158
.LBB35_212:                             ;   in Loop: Header=BB35_83 Depth=2
                                        ; implicit-def: $vgpr38
	s_branch .LBB35_163
.LBB35_213:                             ;   in Loop: Header=BB35_83 Depth=2
                                        ; implicit-def: $vgpr4
.LBB35_214:                             ;   in Loop: Header=BB35_83 Depth=2
	s_delay_alu instid0(VALU_DEP_1) | instskip(NEXT) | instid1(VALU_DEP_1)
	v_bfe_i32 v4, v16, 0, 8
	v_bfe_i32 v4, v4, 0, 16
	s_delay_alu instid0(VALU_DEP_1) | instskip(NEXT) | instid1(VALU_DEP_1)
	v_cvt_f32_i32_e32 v4, v4
	v_fma_mixlo_f16 v4, v4, v27, v13 op_sel_hi:[0,1,1]
	s_branch .LBB35_80
.LBB35_215:                             ;   in Loop: Header=BB35_83 Depth=2
	v_add_co_u32 v39, vcc_lo, s56, v6
	v_add_co_ci_u32_e32 v40, vcc_lo, s57, v32, vcc_lo
	global_load_u8 v39, v[39:40], off
	s_or_b32 exec_lo, exec_lo, s84
	s_and_saveexec_b32 s84, s16
	s_cbranch_execz .LBB35_200
.LBB35_216:                             ;   in Loop: Header=BB35_83 Depth=2
	v_add_co_u32 v40, vcc_lo, s58, v6
	v_add_co_ci_u32_e32 v41, vcc_lo, s59, v32, vcc_lo
	global_load_u8 v38, v[40:41], off
	s_or_b32 exec_lo, exec_lo, s84
	v_mov_b32_e32 v40, 0
	s_and_saveexec_b32 s84, s17
	s_cbranch_execnz .LBB35_201
	s_branch .LBB35_202
.LBB35_217:                             ;   in Loop: Header=BB35_69 Depth=1
	v_add_nc_u32_e32 v3, s26, v12
	v_cmp_gt_i32_e32 vcc_lo, s19, v14
	s_mov_b32 s1, exec_lo
	v_cmpx_le_i32_e64 s19, v14
	s_xor_b32 s1, exec_lo, s1
	s_cbranch_execz .LBB35_235
; %bb.218:                              ;   in Loop: Header=BB35_69 Depth=1
	s_mov_b32 s2, exec_lo
	v_cmpx_gt_i32_e64 s19, v12
	s_cbranch_execz .LBB35_220
; %bb.219:                              ;   in Loop: Header=BB35_69 Depth=1
	v_ashrrev_i32_e32 v4, 31, v3
	s_delay_alu instid0(VALU_DEP_1) | instskip(NEXT) | instid1(VALU_DEP_1)
	v_lshlrev_b64 v[20:21], 1, v[3:4]
	v_add_co_u32 v20, s0, s22, v20
	s_delay_alu instid0(VALU_DEP_1)
	v_add_co_ci_u32_e64 v21, s0, s23, v21, s0
	global_load_u16 v4, v[20:21], off
	s_waitcnt vmcnt(0)
	v_add_f16_e32 v4, v4, v41
	global_store_b16 v[20:21], v4, off
.LBB35_220:                             ;   in Loop: Header=BB35_69 Depth=1
	s_or_b32 exec_lo, exec_lo, s2
	v_or_b32_e32 v4, 1, v12
	s_mov_b32 s2, exec_lo
	s_delay_alu instid0(VALU_DEP_1)
	v_cmpx_gt_i32_e64 s19, v4
	s_cbranch_execz .LBB35_222
; %bb.221:                              ;   in Loop: Header=BB35_69 Depth=1
	v_ashrrev_i32_e32 v4, 31, v3
	s_delay_alu instid0(VALU_DEP_1) | instskip(NEXT) | instid1(VALU_DEP_1)
	v_lshlrev_b64 v[20:21], 1, v[3:4]
	v_add_co_u32 v20, s0, s31, v20
	s_delay_alu instid0(VALU_DEP_1)
	v_add_co_ci_u32_e64 v21, s0, s33, v21, s0
	global_load_u16 v4, v[20:21], off
	s_waitcnt vmcnt(0)
	v_add_f16_e32 v4, v4, v6
	global_store_b16 v[20:21], v4, off
.LBB35_222:                             ;   in Loop: Header=BB35_69 Depth=1
	s_or_b32 exec_lo, exec_lo, s2
	v_or_b32_e32 v4, 2, v12
	s_mov_b32 s2, exec_lo
	s_delay_alu instid0(VALU_DEP_1)
	v_cmpx_gt_i32_e64 s19, v4
	s_cbranch_execz .LBB35_224
; %bb.223:                              ;   in Loop: Header=BB35_69 Depth=1
	v_ashrrev_i32_e32 v4, 31, v3
	s_delay_alu instid0(VALU_DEP_1) | instskip(NEXT) | instid1(VALU_DEP_1)
	v_lshlrev_b64 v[20:21], 1, v[3:4]
	v_add_co_u32 v20, s0, s34, v20
	s_delay_alu instid0(VALU_DEP_1)
	v_add_co_ci_u32_e64 v21, s0, s35, v21, s0
	global_load_u16 v4, v[20:21], off
	s_waitcnt vmcnt(0)
	v_add_f16_e32 v4, v4, v5
	global_store_b16 v[20:21], v4, off
.LBB35_224:                             ;   in Loop: Header=BB35_69 Depth=1
	s_or_b32 exec_lo, exec_lo, s2
	v_or_b32_e32 v4, 3, v12
	s_mov_b32 s2, exec_lo
	s_delay_alu instid0(VALU_DEP_1)
	v_cmpx_gt_i32_e64 s19, v4
	s_cbranch_execz .LBB35_226
; %bb.225:                              ;   in Loop: Header=BB35_69 Depth=1
	v_ashrrev_i32_e32 v4, 31, v3
	s_delay_alu instid0(VALU_DEP_1) | instskip(NEXT) | instid1(VALU_DEP_1)
	v_lshlrev_b64 v[4:5], 1, v[3:4]
	v_add_co_u32 v4, s0, s36, v4
	s_delay_alu instid0(VALU_DEP_1)
	v_add_co_ci_u32_e64 v5, s0, s37, v5, s0
	global_load_u16 v6, v[4:5], off
	s_waitcnt vmcnt(0)
	v_add_f16_e32 v6, v6, v40
	global_store_b16 v[4:5], v6, off
.LBB35_226:                             ;   in Loop: Header=BB35_69 Depth=1
	s_or_b32 exec_lo, exec_lo, s2
	v_or_b32_e32 v4, 4, v12
	s_mov_b32 s2, exec_lo
	s_delay_alu instid0(VALU_DEP_1)
	v_cmpx_gt_i32_e64 s19, v4
	s_cbranch_execz .LBB35_228
; %bb.227:                              ;   in Loop: Header=BB35_69 Depth=1
	v_ashrrev_i32_e32 v4, 31, v3
	s_delay_alu instid0(VALU_DEP_1) | instskip(NEXT) | instid1(VALU_DEP_1)
	v_lshlrev_b64 v[4:5], 1, v[3:4]
	v_add_co_u32 v4, s0, s38, v4
	s_delay_alu instid0(VALU_DEP_1)
	v_add_co_ci_u32_e64 v5, s0, s39, v5, s0
	global_load_u16 v6, v[4:5], off
	s_waitcnt vmcnt(0)
	v_add_f16_e32 v6, v6, v38
	global_store_b16 v[4:5], v6, off
.LBB35_228:                             ;   in Loop: Header=BB35_69 Depth=1
	s_or_b32 exec_lo, exec_lo, s2
	v_or_b32_e32 v4, 5, v12
	s_mov_b32 s2, exec_lo
	s_delay_alu instid0(VALU_DEP_1)
	v_cmpx_gt_i32_e64 s19, v4
	s_cbranch_execz .LBB35_230
; %bb.229:                              ;   in Loop: Header=BB35_69 Depth=1
	v_ashrrev_i32_e32 v4, 31, v3
	s_delay_alu instid0(VALU_DEP_1) | instskip(NEXT) | instid1(VALU_DEP_1)
	v_lshlrev_b64 v[4:5], 1, v[3:4]
	v_add_co_u32 v4, s0, s40, v4
	s_delay_alu instid0(VALU_DEP_1)
	v_add_co_ci_u32_e64 v5, s0, s41, v5, s0
	global_load_u16 v6, v[4:5], off
	s_waitcnt vmcnt(0)
	v_add_f16_e32 v6, v6, v37
	global_store_b16 v[4:5], v6, off
.LBB35_230:                             ;   in Loop: Header=BB35_69 Depth=1
	s_or_b32 exec_lo, exec_lo, s2
	v_or_b32_e32 v4, 6, v12
	s_mov_b32 s2, exec_lo
	s_delay_alu instid0(VALU_DEP_1)
	v_cmpx_gt_i32_e64 s19, v4
	s_cbranch_execz .LBB35_232
; %bb.231:                              ;   in Loop: Header=BB35_69 Depth=1
	v_ashrrev_i32_e32 v4, 31, v3
	s_delay_alu instid0(VALU_DEP_1) | instskip(NEXT) | instid1(VALU_DEP_1)
	v_lshlrev_b64 v[4:5], 1, v[3:4]
	v_add_co_u32 v4, s0, s42, v4
	s_delay_alu instid0(VALU_DEP_1)
	v_add_co_ci_u32_e64 v5, s0, s43, v5, s0
	global_load_u16 v6, v[4:5], off
	s_waitcnt vmcnt(0)
	v_add_f16_e32 v6, v6, v34
	global_store_b16 v[4:5], v6, off
.LBB35_232:                             ;   in Loop: Header=BB35_69 Depth=1
	s_or_b32 exec_lo, exec_lo, s2
	v_or_b32_e32 v4, 7, v12
	s_mov_b32 s2, exec_lo
	s_delay_alu instid0(VALU_DEP_1)
	v_cmpx_gt_i32_e64 s19, v4
	s_cbranch_execz .LBB35_234
; %bb.233:                              ;   in Loop: Header=BB35_69 Depth=1
	v_ashrrev_i32_e32 v4, 31, v3
	s_delay_alu instid0(VALU_DEP_1) | instskip(NEXT) | instid1(VALU_DEP_1)
	v_lshlrev_b64 v[3:4], 1, v[3:4]
	v_add_co_u32 v3, s0, s44, v3
	s_delay_alu instid0(VALU_DEP_1)
	v_add_co_ci_u32_e64 v4, s0, s45, v4, s0
	global_load_u16 v5, v[3:4], off
	s_waitcnt vmcnt(0)
	v_add_f16_e32 v5, v5, v32
	global_store_b16 v[3:4], v5, off
.LBB35_234:                             ;   in Loop: Header=BB35_69 Depth=1
	s_or_b32 exec_lo, exec_lo, s2
                                        ; implicit-def: $vgpr3
                                        ; implicit-def: $vgpr41
                                        ; implicit-def: $vgpr6
                                        ; implicit-def: $vgpr5
                                        ; implicit-def: $vgpr40
                                        ; implicit-def: $vgpr38
                                        ; implicit-def: $vgpr37
                                        ; implicit-def: $vgpr34
                                        ; implicit-def: $vgpr32
.LBB35_235:                             ;   in Loop: Header=BB35_69 Depth=1
	s_and_not1_saveexec_b32 s1, s1
	s_cbranch_execz .LBB35_237
; %bb.236:                              ;   in Loop: Header=BB35_69 Depth=1
	v_ashrrev_i32_e32 v4, 31, v3
	s_delay_alu instid0(VALU_DEP_1) | instskip(NEXT) | instid1(VALU_DEP_1)
	v_lshrrev_b32_e32 v4, 29, v4
	v_add_nc_u32_e32 v3, v3, v4
	s_delay_alu instid0(VALU_DEP_1) | instskip(NEXT) | instid1(VALU_DEP_1)
	v_ashrrev_i32_e32 v3, 3, v3
	v_ashrrev_i32_e32 v4, 31, v3
	s_delay_alu instid0(VALU_DEP_1) | instskip(NEXT) | instid1(VALU_DEP_1)
	v_lshlrev_b64 v[3:4], 4, v[3:4]
	v_add_co_u32 v20, s0, s22, v3
	s_delay_alu instid0(VALU_DEP_1)
	v_add_co_ci_u32_e64 v21, s0, s23, v4, s0
	global_load_b128 v[26:29], v[20:21], off
	s_waitcnt vmcnt(0)
	v_lshrrev_b32_e32 v3, 16, v26
	v_lshrrev_b32_e32 v4, 16, v27
	v_lshrrev_b32_e32 v22, 16, v28
	v_lshrrev_b32_e32 v30, 16, v29
	v_add_f16_e32 v26, v41, v26
	v_add_f16_e32 v27, v5, v27
	;; [unrolled: 1-line block ×8, first 2 shown]
	s_delay_alu instid0(VALU_DEP_4) | instskip(NEXT) | instid1(VALU_DEP_4)
	v_pack_b32_f16 v6, v28, v29
	v_pack_b32_f16 v5, v5, v22
	s_delay_alu instid0(VALU_DEP_4) | instskip(NEXT) | instid1(VALU_DEP_4)
	v_pack_b32_f16 v4, v27, v4
	v_pack_b32_f16 v3, v26, v3
	global_store_b128 v[20:21], v[3:6], off
.LBB35_237:                             ;   in Loop: Header=BB35_69 Depth=1
	s_or_b32 exec_lo, exec_lo, s1
	v_cmp_le_i32_e64 s0, s19, v15
	s_delay_alu instid0(VALU_DEP_1) | instskip(NEXT) | instid1(SALU_CYCLE_1)
	s_and_saveexec_b32 s1, s0
	s_xor_b32 s0, exec_lo, s1
	s_cbranch_execz .LBB35_255
; %bb.238:                              ;   in Loop: Header=BB35_69 Depth=1
	s_and_saveexec_b32 s1, vcc_lo
	s_cbranch_execz .LBB35_240
; %bb.239:                              ;   in Loop: Header=BB35_69 Depth=1
	v_ashrrev_i32_e32 v4, 31, v12
	v_add_co_u32 v3, vcc_lo, v12, s26
	s_delay_alu instid0(VALU_DEP_2) | instskip(NEXT) | instid1(VALU_DEP_1)
	v_add_co_ci_u32_e32 v4, vcc_lo, s62, v4, vcc_lo
	v_lshlrev_b64 v[3:4], 1, v[3:4]
	s_delay_alu instid0(VALU_DEP_1) | instskip(NEXT) | instid1(VALU_DEP_2)
	v_add_co_u32 v3, vcc_lo, s63, v3
	v_add_co_ci_u32_e32 v4, vcc_lo, s64, v4, vcc_lo
	global_load_u16 v5, v[3:4], off
	s_waitcnt vmcnt(0)
	v_add_f16_e32 v5, v5, v25
	global_store_b16 v[3:4], v5, off
.LBB35_240:                             ;   in Loop: Header=BB35_69 Depth=1
	s_or_b32 exec_lo, exec_lo, s1
	v_or_b32_e32 v3, 9, v12
	s_mov_b32 s1, exec_lo
	s_delay_alu instid0(VALU_DEP_1)
	v_cmpx_gt_i32_e64 s19, v3
	s_cbranch_execz .LBB35_242
; %bb.241:                              ;   in Loop: Header=BB35_69 Depth=1
	v_ashrrev_i32_e32 v4, 31, v12
	v_add_co_u32 v3, vcc_lo, v12, s26
	s_delay_alu instid0(VALU_DEP_2) | instskip(NEXT) | instid1(VALU_DEP_1)
	v_add_co_ci_u32_e32 v4, vcc_lo, s62, v4, vcc_lo
	v_lshlrev_b64 v[3:4], 1, v[3:4]
	s_delay_alu instid0(VALU_DEP_1) | instskip(NEXT) | instid1(VALU_DEP_2)
	v_add_co_u32 v3, vcc_lo, s65, v3
	v_add_co_ci_u32_e32 v4, vcc_lo, s66, v4, vcc_lo
	global_load_u16 v5, v[3:4], off
	s_waitcnt vmcnt(0)
	v_add_f16_e32 v5, v5, v24
	global_store_b16 v[3:4], v5, off
.LBB35_242:                             ;   in Loop: Header=BB35_69 Depth=1
	s_or_b32 exec_lo, exec_lo, s1
	v_or_b32_e32 v3, 10, v12
	s_mov_b32 s1, exec_lo
	s_delay_alu instid0(VALU_DEP_1)
	v_cmpx_gt_i32_e64 s19, v3
	;; [unrolled: 20-line block ×7, first 2 shown]
	s_cbranch_execz .LBB35_254
; %bb.253:                              ;   in Loop: Header=BB35_69 Depth=1
	v_ashrrev_i32_e32 v4, 31, v12
	v_add_co_u32 v3, vcc_lo, v12, s26
	s_delay_alu instid0(VALU_DEP_2) | instskip(NEXT) | instid1(VALU_DEP_1)
	v_add_co_ci_u32_e32 v4, vcc_lo, s62, v4, vcc_lo
	v_lshlrev_b64 v[3:4], 1, v[3:4]
	s_delay_alu instid0(VALU_DEP_1) | instskip(NEXT) | instid1(VALU_DEP_2)
	v_add_co_u32 v3, vcc_lo, s77, v3
	v_add_co_ci_u32_e32 v4, vcc_lo, s78, v4, vcc_lo
	global_load_u16 v5, v[3:4], off
	s_waitcnt vmcnt(0)
	v_add_f16_e32 v5, v5, v13
	global_store_b16 v[3:4], v5, off
.LBB35_254:                             ;   in Loop: Header=BB35_69 Depth=1
	s_or_b32 exec_lo, exec_lo, s1
                                        ; implicit-def: $vgpr25
                                        ; implicit-def: $vgpr24
                                        ; implicit-def: $vgpr23
                                        ; implicit-def: $vgpr19
                                        ; implicit-def: $vgpr18
                                        ; implicit-def: $vgpr17
                                        ; implicit-def: $vgpr16
                                        ; implicit-def: $vgpr13
                                        ; implicit-def: $vgpr14
.LBB35_255:                             ;   in Loop: Header=BB35_69 Depth=1
	s_and_not1_saveexec_b32 s0, s0
	s_cbranch_execz .LBB35_68
; %bb.256:                              ;   in Loop: Header=BB35_69 Depth=1
	v_add_nc_u32_e32 v3, s26, v14
	v_perm_b32 v6, v13, v16, 0x5040100
	v_perm_b32 v5, v17, v18, 0x5040100
	s_delay_alu instid0(VALU_DEP_3) | instskip(NEXT) | instid1(VALU_DEP_1)
	v_ashrrev_i32_e32 v4, 31, v3
	v_lshrrev_b32_e32 v4, 29, v4
	s_delay_alu instid0(VALU_DEP_1) | instskip(NEXT) | instid1(VALU_DEP_1)
	v_add_nc_u32_e32 v3, v3, v4
	v_ashrrev_i32_e32 v3, 3, v3
	s_delay_alu instid0(VALU_DEP_1) | instskip(NEXT) | instid1(VALU_DEP_1)
	v_ashrrev_i32_e32 v4, 31, v3
	v_lshlrev_b64 v[3:4], 4, v[3:4]
	s_delay_alu instid0(VALU_DEP_1) | instskip(NEXT) | instid1(VALU_DEP_2)
	v_add_co_u32 v14, vcc_lo, s22, v3
	v_add_co_ci_u32_e32 v15, vcc_lo, s23, v4, vcc_lo
	v_perm_b32 v4, v19, v23, 0x5040100
	global_load_u16 v3, v[14:15], off offset:14
	s_waitcnt vmcnt(0)
	v_add_f16_e32 v3, v25, v3
	s_delay_alu instid0(VALU_DEP_1)
	v_perm_b32 v3, v24, v3, 0x5040100
	global_store_b128 v[14:15], v[3:6], off
	s_branch .LBB35_68
.LBB35_257:
	s_endpgm
	.section	.rodata,"a",@progbits
	.p2align	6, 0x0
	.amdhsa_kernel _Z27kspmm_coo_very_sparse_naiveIaLi16ELi8EEvPiS0_S0_S0_S0_P6__halfPT_S2_Pfiiii
		.amdhsa_group_segment_fixed_size 4096
		.amdhsa_private_segment_fixed_size 208
		.amdhsa_kernarg_size 344
		.amdhsa_user_sgpr_count 15
		.amdhsa_user_sgpr_dispatch_ptr 0
		.amdhsa_user_sgpr_queue_ptr 0
		.amdhsa_user_sgpr_kernarg_segment_ptr 1
		.amdhsa_user_sgpr_dispatch_id 0
		.amdhsa_user_sgpr_private_segment_size 0
		.amdhsa_wavefront_size32 1
		.amdhsa_uses_dynamic_stack 0
		.amdhsa_enable_private_segment 1
		.amdhsa_system_sgpr_workgroup_id_x 1
		.amdhsa_system_sgpr_workgroup_id_y 0
		.amdhsa_system_sgpr_workgroup_id_z 0
		.amdhsa_system_sgpr_workgroup_info 0
		.amdhsa_system_vgpr_workitem_id 0
		.amdhsa_next_free_vgpr 42
		.amdhsa_next_free_sgpr 85
		.amdhsa_reserve_vcc 1
		.amdhsa_float_round_mode_32 0
		.amdhsa_float_round_mode_16_64 0
		.amdhsa_float_denorm_mode_32 3
		.amdhsa_float_denorm_mode_16_64 3
		.amdhsa_dx10_clamp 1
		.amdhsa_ieee_mode 1
		.amdhsa_fp16_overflow 0
		.amdhsa_workgroup_processor_mode 1
		.amdhsa_memory_ordered 1
		.amdhsa_forward_progress 0
		.amdhsa_shared_vgpr_count 0
		.amdhsa_exception_fp_ieee_invalid_op 0
		.amdhsa_exception_fp_denorm_src 0
		.amdhsa_exception_fp_ieee_div_zero 0
		.amdhsa_exception_fp_ieee_overflow 0
		.amdhsa_exception_fp_ieee_underflow 0
		.amdhsa_exception_fp_ieee_inexact 0
		.amdhsa_exception_int_div_zero 0
	.end_amdhsa_kernel
	.section	.text._Z27kspmm_coo_very_sparse_naiveIaLi16ELi8EEvPiS0_S0_S0_S0_P6__halfPT_S2_Pfiiii,"axG",@progbits,_Z27kspmm_coo_very_sparse_naiveIaLi16ELi8EEvPiS0_S0_S0_S0_P6__halfPT_S2_Pfiiii,comdat
.Lfunc_end35:
	.size	_Z27kspmm_coo_very_sparse_naiveIaLi16ELi8EEvPiS0_S0_S0_S0_P6__halfPT_S2_Pfiiii, .Lfunc_end35-_Z27kspmm_coo_very_sparse_naiveIaLi16ELi8EEvPiS0_S0_S0_S0_P6__halfPT_S2_Pfiiii
                                        ; -- End function
	.section	.AMDGPU.csdata,"",@progbits
; Kernel info:
; codeLenInByte = 11252
; NumSgprs: 87
; NumVgprs: 42
; ScratchSize: 208
; MemoryBound: 0
; FloatMode: 240
; IeeeMode: 1
; LDSByteSize: 4096 bytes/workgroup (compile time only)
; SGPRBlocks: 10
; VGPRBlocks: 5
; NumSGPRsForWavesPerEU: 87
; NumVGPRsForWavesPerEU: 42
; Occupancy: 16
; WaveLimiterHint : 1
; COMPUTE_PGM_RSRC2:SCRATCH_EN: 1
; COMPUTE_PGM_RSRC2:USER_SGPR: 15
; COMPUTE_PGM_RSRC2:TRAP_HANDLER: 0
; COMPUTE_PGM_RSRC2:TGID_X_EN: 1
; COMPUTE_PGM_RSRC2:TGID_Y_EN: 0
; COMPUTE_PGM_RSRC2:TGID_Z_EN: 0
; COMPUTE_PGM_RSRC2:TIDIG_COMP_CNT: 0
	.section	.text._Z27kspmm_coo_very_sparse_naiveIaLi32ELi8EEvPiS0_S0_S0_S0_P6__halfPT_S2_Pfiiii,"axG",@progbits,_Z27kspmm_coo_very_sparse_naiveIaLi32ELi8EEvPiS0_S0_S0_S0_P6__halfPT_S2_Pfiiii,comdat
